;; amdgpu-corpus repo=ROCm/rocFFT kind=compiled arch=gfx1100 opt=O3
	.text
	.amdgcn_target "amdgcn-amd-amdhsa--gfx1100"
	.amdhsa_code_object_version 6
	.protected	fft_rtc_back_len4050_factors_10_5_3_3_3_3_wgs_135_tpt_135_halfLds_dp_op_CI_CI_unitstride_sbrr_C2R_dirReg ; -- Begin function fft_rtc_back_len4050_factors_10_5_3_3_3_3_wgs_135_tpt_135_halfLds_dp_op_CI_CI_unitstride_sbrr_C2R_dirReg
	.globl	fft_rtc_back_len4050_factors_10_5_3_3_3_3_wgs_135_tpt_135_halfLds_dp_op_CI_CI_unitstride_sbrr_C2R_dirReg
	.p2align	8
	.type	fft_rtc_back_len4050_factors_10_5_3_3_3_3_wgs_135_tpt_135_halfLds_dp_op_CI_CI_unitstride_sbrr_C2R_dirReg,@function
fft_rtc_back_len4050_factors_10_5_3_3_3_3_wgs_135_tpt_135_halfLds_dp_op_CI_CI_unitstride_sbrr_C2R_dirReg: ; @fft_rtc_back_len4050_factors_10_5_3_3_3_3_wgs_135_tpt_135_halfLds_dp_op_CI_CI_unitstride_sbrr_C2R_dirReg
; %bb.0:
	s_clause 0x2
	s_load_b128 s[8:11], s[0:1], 0x0
	s_load_b128 s[4:7], s[0:1], 0x58
	;; [unrolled: 1-line block ×3, first 2 shown]
	v_mul_u32_u24_e32 v1, 0x1e6, v0
	v_mov_b32_e32 v3, 0
	s_delay_alu instid0(VALU_DEP_2) | instskip(NEXT) | instid1(VALU_DEP_1)
	v_lshrrev_b32_e32 v1, 16, v1
	v_add_nc_u32_e32 v5, s15, v1
	v_mov_b32_e32 v1, 0
	v_mov_b32_e32 v2, 0
	;; [unrolled: 1-line block ×3, first 2 shown]
	s_waitcnt lgkmcnt(0)
	v_cmp_lt_u64_e64 s2, s[10:11], 2
	s_delay_alu instid0(VALU_DEP_1)
	s_and_b32 vcc_lo, exec_lo, s2
	s_cbranch_vccnz .LBB0_8
; %bb.1:
	s_load_b64 s[2:3], s[0:1], 0x10
	v_mov_b32_e32 v1, 0
	v_mov_b32_e32 v2, 0
	s_add_u32 s12, s18, 8
	s_addc_u32 s13, s19, 0
	s_add_u32 s14, s16, 8
	s_addc_u32 s15, s17, 0
	v_dual_mov_b32 v119, v2 :: v_dual_mov_b32 v118, v1
	s_mov_b64 s[22:23], 1
	s_waitcnt lgkmcnt(0)
	s_add_u32 s20, s2, 8
	s_addc_u32 s21, s3, 0
.LBB0_2:                                ; =>This Inner Loop Header: Depth=1
	s_load_b64 s[24:25], s[20:21], 0x0
                                        ; implicit-def: $vgpr7_vgpr8
                                        ; kill: killed $vgpr7_vgpr8
	s_mov_b32 s2, exec_lo
	s_waitcnt lgkmcnt(0)
	v_or_b32_e32 v4, s25, v6
	s_delay_alu instid0(VALU_DEP_1)
	v_cmpx_ne_u64_e32 0, v[3:4]
	s_xor_b32 s3, exec_lo, s2
	s_cbranch_execz .LBB0_4
; %bb.3:                                ;   in Loop: Header=BB0_2 Depth=1
	v_cvt_f32_u32_e32 v4, s24
	v_cvt_f32_u32_e32 v7, s25
	s_sub_u32 s2, 0, s24
	s_subb_u32 s26, 0, s25
	s_delay_alu instid0(VALU_DEP_1) | instskip(NEXT) | instid1(VALU_DEP_1)
	v_fmac_f32_e32 v4, 0x4f800000, v7
	v_rcp_f32_e32 v4, v4
	s_waitcnt_depctr 0xfff
	v_mul_f32_e32 v4, 0x5f7ffffc, v4
	s_delay_alu instid0(VALU_DEP_1) | instskip(NEXT) | instid1(VALU_DEP_1)
	v_mul_f32_e32 v7, 0x2f800000, v4
	v_trunc_f32_e32 v7, v7
	s_delay_alu instid0(VALU_DEP_1) | instskip(SKIP_1) | instid1(VALU_DEP_2)
	v_fmac_f32_e32 v4, 0xcf800000, v7
	v_cvt_u32_f32_e32 v7, v7
	v_cvt_u32_f32_e32 v4, v4
	s_delay_alu instid0(VALU_DEP_2) | instskip(NEXT) | instid1(VALU_DEP_2)
	v_mul_lo_u32 v8, s2, v7
	v_mul_hi_u32 v9, s2, v4
	v_mul_lo_u32 v10, s26, v4
	s_delay_alu instid0(VALU_DEP_2) | instskip(SKIP_1) | instid1(VALU_DEP_2)
	v_add_nc_u32_e32 v8, v9, v8
	v_mul_lo_u32 v9, s2, v4
	v_add_nc_u32_e32 v8, v8, v10
	s_delay_alu instid0(VALU_DEP_2) | instskip(NEXT) | instid1(VALU_DEP_2)
	v_mul_hi_u32 v10, v4, v9
	v_mul_lo_u32 v11, v4, v8
	v_mul_hi_u32 v12, v4, v8
	v_mul_hi_u32 v13, v7, v9
	v_mul_lo_u32 v9, v7, v9
	v_mul_hi_u32 v14, v7, v8
	v_mul_lo_u32 v8, v7, v8
	v_add_co_u32 v10, vcc_lo, v10, v11
	v_add_co_ci_u32_e32 v11, vcc_lo, 0, v12, vcc_lo
	s_delay_alu instid0(VALU_DEP_2) | instskip(NEXT) | instid1(VALU_DEP_2)
	v_add_co_u32 v9, vcc_lo, v10, v9
	v_add_co_ci_u32_e32 v9, vcc_lo, v11, v13, vcc_lo
	v_add_co_ci_u32_e32 v10, vcc_lo, 0, v14, vcc_lo
	s_delay_alu instid0(VALU_DEP_2) | instskip(NEXT) | instid1(VALU_DEP_2)
	v_add_co_u32 v8, vcc_lo, v9, v8
	v_add_co_ci_u32_e32 v9, vcc_lo, 0, v10, vcc_lo
	s_delay_alu instid0(VALU_DEP_2) | instskip(NEXT) | instid1(VALU_DEP_2)
	v_add_co_u32 v4, vcc_lo, v4, v8
	v_add_co_ci_u32_e32 v7, vcc_lo, v7, v9, vcc_lo
	s_delay_alu instid0(VALU_DEP_2) | instskip(SKIP_1) | instid1(VALU_DEP_3)
	v_mul_hi_u32 v8, s2, v4
	v_mul_lo_u32 v10, s26, v4
	v_mul_lo_u32 v9, s2, v7
	s_delay_alu instid0(VALU_DEP_1) | instskip(SKIP_1) | instid1(VALU_DEP_2)
	v_add_nc_u32_e32 v8, v8, v9
	v_mul_lo_u32 v9, s2, v4
	v_add_nc_u32_e32 v8, v8, v10
	s_delay_alu instid0(VALU_DEP_2) | instskip(NEXT) | instid1(VALU_DEP_2)
	v_mul_hi_u32 v10, v4, v9
	v_mul_lo_u32 v11, v4, v8
	v_mul_hi_u32 v12, v4, v8
	v_mul_hi_u32 v13, v7, v9
	v_mul_lo_u32 v9, v7, v9
	v_mul_hi_u32 v14, v7, v8
	v_mul_lo_u32 v8, v7, v8
	v_add_co_u32 v10, vcc_lo, v10, v11
	v_add_co_ci_u32_e32 v11, vcc_lo, 0, v12, vcc_lo
	s_delay_alu instid0(VALU_DEP_2) | instskip(NEXT) | instid1(VALU_DEP_2)
	v_add_co_u32 v9, vcc_lo, v10, v9
	v_add_co_ci_u32_e32 v9, vcc_lo, v11, v13, vcc_lo
	v_add_co_ci_u32_e32 v10, vcc_lo, 0, v14, vcc_lo
	s_delay_alu instid0(VALU_DEP_2) | instskip(NEXT) | instid1(VALU_DEP_2)
	v_add_co_u32 v8, vcc_lo, v9, v8
	v_add_co_ci_u32_e32 v9, vcc_lo, 0, v10, vcc_lo
	s_delay_alu instid0(VALU_DEP_2) | instskip(NEXT) | instid1(VALU_DEP_2)
	v_add_co_u32 v4, vcc_lo, v4, v8
	v_add_co_ci_u32_e32 v13, vcc_lo, v7, v9, vcc_lo
	s_delay_alu instid0(VALU_DEP_2) | instskip(SKIP_1) | instid1(VALU_DEP_3)
	v_mul_hi_u32 v14, v5, v4
	v_mad_u64_u32 v[9:10], null, v6, v4, 0
	v_mad_u64_u32 v[7:8], null, v5, v13, 0
	;; [unrolled: 1-line block ×3, first 2 shown]
	s_delay_alu instid0(VALU_DEP_2) | instskip(NEXT) | instid1(VALU_DEP_3)
	v_add_co_u32 v4, vcc_lo, v14, v7
	v_add_co_ci_u32_e32 v7, vcc_lo, 0, v8, vcc_lo
	s_delay_alu instid0(VALU_DEP_2) | instskip(NEXT) | instid1(VALU_DEP_2)
	v_add_co_u32 v4, vcc_lo, v4, v9
	v_add_co_ci_u32_e32 v4, vcc_lo, v7, v10, vcc_lo
	v_add_co_ci_u32_e32 v7, vcc_lo, 0, v12, vcc_lo
	s_delay_alu instid0(VALU_DEP_2) | instskip(NEXT) | instid1(VALU_DEP_2)
	v_add_co_u32 v4, vcc_lo, v4, v11
	v_add_co_ci_u32_e32 v9, vcc_lo, 0, v7, vcc_lo
	s_delay_alu instid0(VALU_DEP_2) | instskip(SKIP_1) | instid1(VALU_DEP_3)
	v_mul_lo_u32 v10, s25, v4
	v_mad_u64_u32 v[7:8], null, s24, v4, 0
	v_mul_lo_u32 v11, s24, v9
	s_delay_alu instid0(VALU_DEP_2) | instskip(NEXT) | instid1(VALU_DEP_2)
	v_sub_co_u32 v7, vcc_lo, v5, v7
	v_add3_u32 v8, v8, v11, v10
	s_delay_alu instid0(VALU_DEP_1) | instskip(NEXT) | instid1(VALU_DEP_1)
	v_sub_nc_u32_e32 v10, v6, v8
	v_subrev_co_ci_u32_e64 v10, s2, s25, v10, vcc_lo
	v_add_co_u32 v11, s2, v4, 2
	s_delay_alu instid0(VALU_DEP_1) | instskip(SKIP_3) | instid1(VALU_DEP_3)
	v_add_co_ci_u32_e64 v12, s2, 0, v9, s2
	v_sub_co_u32 v13, s2, v7, s24
	v_sub_co_ci_u32_e32 v8, vcc_lo, v6, v8, vcc_lo
	v_subrev_co_ci_u32_e64 v10, s2, 0, v10, s2
	v_cmp_le_u32_e32 vcc_lo, s24, v13
	s_delay_alu instid0(VALU_DEP_3) | instskip(SKIP_1) | instid1(VALU_DEP_4)
	v_cmp_eq_u32_e64 s2, s25, v8
	v_cndmask_b32_e64 v13, 0, -1, vcc_lo
	v_cmp_le_u32_e32 vcc_lo, s25, v10
	v_cndmask_b32_e64 v14, 0, -1, vcc_lo
	v_cmp_le_u32_e32 vcc_lo, s24, v7
	;; [unrolled: 2-line block ×3, first 2 shown]
	v_cndmask_b32_e64 v15, 0, -1, vcc_lo
	v_cmp_eq_u32_e32 vcc_lo, s25, v10
	s_delay_alu instid0(VALU_DEP_2) | instskip(SKIP_3) | instid1(VALU_DEP_3)
	v_cndmask_b32_e64 v7, v15, v7, s2
	v_cndmask_b32_e32 v10, v14, v13, vcc_lo
	v_add_co_u32 v13, vcc_lo, v4, 1
	v_add_co_ci_u32_e32 v14, vcc_lo, 0, v9, vcc_lo
	v_cmp_ne_u32_e32 vcc_lo, 0, v10
	s_delay_alu instid0(VALU_DEP_2) | instskip(NEXT) | instid1(VALU_DEP_4)
	v_cndmask_b32_e32 v8, v14, v12, vcc_lo
	v_cndmask_b32_e32 v10, v13, v11, vcc_lo
	v_cmp_ne_u32_e32 vcc_lo, 0, v7
	s_delay_alu instid0(VALU_DEP_2)
	v_dual_cndmask_b32 v7, v4, v10 :: v_dual_cndmask_b32 v8, v9, v8
	scratch_store_b64 off, v[7:8], off      ; 8-byte Folded Spill
.LBB0_4:                                ;   in Loop: Header=BB0_2 Depth=1
	s_and_not1_saveexec_b32 s2, s3
	s_cbranch_execz .LBB0_6
; %bb.5:                                ;   in Loop: Header=BB0_2 Depth=1
	v_cvt_f32_u32_e32 v4, s24
	s_sub_i32 s3, 0, s24
	s_delay_alu instid0(VALU_DEP_1) | instskip(SKIP_2) | instid1(VALU_DEP_1)
	v_rcp_iflag_f32_e32 v4, v4
	s_waitcnt_depctr 0xfff
	v_mul_f32_e32 v4, 0x4f7ffffe, v4
	v_cvt_u32_f32_e32 v4, v4
	s_delay_alu instid0(VALU_DEP_1) | instskip(NEXT) | instid1(VALU_DEP_1)
	v_mul_lo_u32 v7, s3, v4
	v_mul_hi_u32 v7, v4, v7
	s_delay_alu instid0(VALU_DEP_1) | instskip(NEXT) | instid1(VALU_DEP_1)
	v_add_nc_u32_e32 v4, v4, v7
	v_mul_hi_u32 v4, v5, v4
	s_delay_alu instid0(VALU_DEP_1) | instskip(SKIP_1) | instid1(VALU_DEP_2)
	v_mul_lo_u32 v7, v4, s24
	v_add_nc_u32_e32 v8, 1, v4
	v_sub_nc_u32_e32 v7, v5, v7
	s_delay_alu instid0(VALU_DEP_1) | instskip(SKIP_1) | instid1(VALU_DEP_2)
	v_subrev_nc_u32_e32 v9, s24, v7
	v_cmp_le_u32_e32 vcc_lo, s24, v7
	v_dual_cndmask_b32 v7, v7, v9 :: v_dual_cndmask_b32 v4, v4, v8
	s_delay_alu instid0(VALU_DEP_1) | instskip(NEXT) | instid1(VALU_DEP_2)
	v_cmp_le_u32_e32 vcc_lo, s24, v7
	v_add_nc_u32_e32 v8, 1, v4
	s_delay_alu instid0(VALU_DEP_1)
	v_dual_cndmask_b32 v7, v4, v8 :: v_dual_mov_b32 v8, v3
	scratch_store_b64 off, v[7:8], off      ; 8-byte Folded Spill
.LBB0_6:                                ;   in Loop: Header=BB0_2 Depth=1
	s_or_b32 exec_lo, exec_lo, s2
	scratch_load_b64 v[13:14], off, off     ; 8-byte Folded Reload
	s_load_b64 s[2:3], s[14:15], 0x0
	s_add_u32 s22, s22, 1
	s_addc_u32 s23, s23, 0
	s_waitcnt vmcnt(0)
	v_mul_lo_u32 v4, v14, s24
	v_mul_lo_u32 v9, v13, s25
	v_mad_u64_u32 v[7:8], null, v13, s24, 0
	s_load_b64 s[24:25], s[12:13], 0x0
	s_add_u32 s12, s12, 8
	s_addc_u32 s13, s13, 0
	s_add_u32 s14, s14, 8
	s_addc_u32 s15, s15, 0
	s_add_u32 s20, s20, 8
	s_delay_alu instid0(VALU_DEP_1) | instskip(SKIP_2) | instid1(VALU_DEP_2)
	v_add3_u32 v4, v8, v9, v4
	v_sub_co_u32 v8, vcc_lo, v5, v7
	s_addc_u32 s21, s21, 0
	v_sub_co_ci_u32_e32 v6, vcc_lo, v6, v4, vcc_lo
	s_waitcnt lgkmcnt(0)
	s_delay_alu instid0(VALU_DEP_2) | instskip(SKIP_1) | instid1(VALU_DEP_3)
	v_mul_lo_u32 v10, s3, v8
	v_mad_u64_u32 v[4:5], null, s2, v8, v[1:2]
	v_mul_lo_u32 v9, s2, v6
	v_cmp_ge_u64_e64 s2, s[22:23], s[10:11]
	v_mul_lo_u32 v11, s24, v6
	v_mul_lo_u32 v12, s25, v8
	v_mad_u64_u32 v[6:7], null, s24, v8, v[118:119]
	v_add3_u32 v2, v10, v5, v9
	v_mov_b32_e32 v1, v4
	s_and_b32 vcc_lo, exec_lo, s2
	s_delay_alu instid0(VALU_DEP_3) | instskip(NEXT) | instid1(VALU_DEP_4)
	v_mov_b32_e32 v118, v6
	v_add3_u32 v119, v12, v7, v11
	s_cbranch_vccnz .LBB0_9
; %bb.7:                                ;   in Loop: Header=BB0_2 Depth=1
	v_dual_mov_b32 v5, v13 :: v_dual_mov_b32 v6, v14
	s_branch .LBB0_2
.LBB0_8:
	v_dual_mov_b32 v119, v2 :: v_dual_mov_b32 v118, v1
	scratch_store_b64 off, v[5:6], off      ; 8-byte Folded Spill
.LBB0_9:
	scratch_load_b64 v[4:5], off, off       ; 8-byte Folded Reload
	s_load_b64 s[0:1], s[0:1], 0x28
	v_mul_hi_u32 v3, 0x1e573ad, v0
	s_lshl_b64 s[10:11], s[10:11], 3
                                        ; implicit-def: $vgpr120
	s_delay_alu instid0(SALU_CYCLE_1) | instskip(SKIP_4) | instid1(VALU_DEP_1)
	s_add_u32 s2, s18, s10
	s_addc_u32 s3, s19, s11
	s_waitcnt vmcnt(0) lgkmcnt(0)
	v_cmp_gt_u64_e32 vcc_lo, s[0:1], v[4:5]
	v_cmp_le_u64_e64 s0, s[0:1], v[4:5]
	s_and_saveexec_b32 s1, s0
	s_delay_alu instid0(SALU_CYCLE_1)
	s_xor_b32 s0, exec_lo, s1
; %bb.10:
	v_mul_u32_u24_e32 v1, 0x87, v3
                                        ; implicit-def: $vgpr3
	s_delay_alu instid0(VALU_DEP_1)
	v_sub_nc_u32_e32 v120, v0, v1
                                        ; implicit-def: $vgpr0
                                        ; implicit-def: $vgpr1_vgpr2
; %bb.11:
	s_or_saveexec_b32 s1, s0
	s_load_b64 s[2:3], s[2:3], 0x0
	s_xor_b32 exec_lo, exec_lo, s1
	s_cbranch_execz .LBB0_15
; %bb.12:
	scratch_load_b64 v[8:9], off, off       ; 8-byte Folded Reload
	s_add_u32 s10, s16, s10
	s_addc_u32 s11, s17, s11
	v_lshlrev_b64 v[1:2], 4, v[1:2]
	s_load_b64 s[10:11], s[10:11], 0x0
	s_waitcnt vmcnt(0) lgkmcnt(0)
	v_mul_lo_u32 v6, s11, v8
	v_mul_lo_u32 v7, s10, v9
	v_mad_u64_u32 v[4:5], null, s10, v8, 0
	s_delay_alu instid0(VALU_DEP_1) | instskip(SKIP_1) | instid1(VALU_DEP_2)
	v_add3_u32 v5, v5, v7, v6
	v_mul_u32_u24_e32 v6, 0x87, v3
	v_lshlrev_b64 v[3:4], 4, v[4:5]
	s_delay_alu instid0(VALU_DEP_2) | instskip(NEXT) | instid1(VALU_DEP_1)
	v_sub_nc_u32_e32 v120, v0, v6
	v_lshlrev_b32_e32 v116, 4, v120
	s_delay_alu instid0(VALU_DEP_3) | instskip(NEXT) | instid1(VALU_DEP_1)
	v_add_co_u32 v0, s0, s4, v3
	v_add_co_ci_u32_e64 v3, s0, s5, v4, s0
	s_delay_alu instid0(VALU_DEP_2) | instskip(NEXT) | instid1(VALU_DEP_1)
	v_add_co_u32 v0, s0, v0, v1
	v_add_co_ci_u32_e64 v1, s0, v3, v2, s0
	s_delay_alu instid0(VALU_DEP_2) | instskip(NEXT) | instid1(VALU_DEP_1)
	v_add_co_u32 v34, s0, v0, v116
	v_add_co_ci_u32_e64 v35, s0, 0, v1, s0
	s_clause 0x1
	global_load_b128 v[2:5], v[34:35], off
	global_load_b128 v[6:9], v[34:35], off offset:2160
	v_add_co_u32 v14, s0, 0x1000, v34
	s_delay_alu instid0(VALU_DEP_1) | instskip(SKIP_1) | instid1(VALU_DEP_1)
	v_add_co_ci_u32_e64 v15, s0, 0, v35, s0
	v_add_co_u32 v22, s0, 0x2000, v34
	v_add_co_ci_u32_e64 v23, s0, 0, v35, s0
	v_add_co_u32 v30, s0, 0x3000, v34
	s_delay_alu instid0(VALU_DEP_1) | instskip(SKIP_1) | instid1(VALU_DEP_1)
	v_add_co_ci_u32_e64 v31, s0, 0, v35, s0
	v_add_co_u32 v38, s0, 0x4000, v34
	v_add_co_ci_u32_e64 v39, s0, 0, v35, s0
	v_add_co_u32 v46, s0, 0x5000, v34
	s_delay_alu instid0(VALU_DEP_1) | instskip(SKIP_1) | instid1(VALU_DEP_1)
	v_add_co_ci_u32_e64 v47, s0, 0, v35, s0
	v_add_co_u32 v54, s0, 0x6000, v34
	v_add_co_ci_u32_e64 v55, s0, 0, v35, s0
	v_add_co_u32 v62, s0, 0x7000, v34
	s_delay_alu instid0(VALU_DEP_1) | instskip(SKIP_1) | instid1(VALU_DEP_1)
	v_add_co_ci_u32_e64 v63, s0, 0, v35, s0
	v_add_co_u32 v70, s0, 0x8000, v34
	v_add_co_ci_u32_e64 v71, s0, 0, v35, s0
	v_add_co_u32 v74, s0, 0x9000, v34
	s_delay_alu instid0(VALU_DEP_1) | instskip(SKIP_1) | instid1(VALU_DEP_1)
	v_add_co_ci_u32_e64 v75, s0, 0, v35, s0
	v_add_co_u32 v82, s0, 0xa000, v34
	v_add_co_ci_u32_e64 v83, s0, 0, v35, s0
	v_add_co_u32 v90, s0, 0xb000, v34
	s_delay_alu instid0(VALU_DEP_1) | instskip(SKIP_1) | instid1(VALU_DEP_1)
	v_add_co_ci_u32_e64 v91, s0, 0, v35, s0
	v_add_co_u32 v98, s0, 0xc000, v34
	v_add_co_ci_u32_e64 v99, s0, 0, v35, s0
	v_add_co_u32 v106, s0, 0xd000, v34
	s_delay_alu instid0(VALU_DEP_1) | instskip(SKIP_1) | instid1(VALU_DEP_1)
	v_add_co_ci_u32_e64 v107, s0, 0, v35, s0
	v_add_co_u32 v114, s0, 0xe000, v34
	v_add_co_ci_u32_e64 v115, s0, 0, v35, s0
	v_add_co_u32 v126, s0, 0xf000, v34
	s_delay_alu instid0(VALU_DEP_1)
	v_add_co_ci_u32_e64 v127, s0, 0, v35, s0
	s_clause 0x1b
	global_load_b128 v[10:13], v[14:15], off offset:224
	global_load_b128 v[14:17], v[14:15], off offset:2384
	;; [unrolled: 1-line block ×28, first 2 shown]
	v_add_nc_u32_e32 v114, 0, v116
	v_cmp_eq_u32_e64 s0, 0x86, v120
	s_waitcnt vmcnt(29)
	ds_store_b128 v114, v[2:5]
	s_waitcnt vmcnt(28)
	ds_store_b128 v114, v[6:9] offset:2160
	s_waitcnt vmcnt(27)
	ds_store_b128 v114, v[10:13] offset:4320
	;; [unrolled: 2-line block ×29, first 2 shown]
	s_and_saveexec_b32 s4, s0
	s_cbranch_execz .LBB0_14
; %bb.13:
	v_add_co_u32 v0, s0, 0xf000, v0
	s_delay_alu instid0(VALU_DEP_1)
	v_add_co_ci_u32_e64 v1, s0, 0, v1, s0
	v_mov_b32_e32 v4, 0
	v_mov_b32_e32 v120, 0x86
	global_load_b128 v[0:3], v[0:1], off offset:3360
	s_waitcnt vmcnt(0)
	ds_store_b128 v4, v[0:3] offset:64800
.LBB0_14:
	s_or_b32 exec_lo, exec_lo, s4
.LBB0_15:
	s_delay_alu instid0(SALU_CYCLE_1)
	s_or_b32 exec_lo, exec_lo, s1
	v_lshlrev_b32_e32 v0, 4, v120
	s_waitcnt lgkmcnt(0)
	s_waitcnt_vscnt null, 0x0
	s_barrier
	buffer_gl0_inv
	s_add_u32 s1, s8, 0xfc80
	v_add_nc_u32_e32 v238, 0, v0
	v_sub_nc_u32_e32 v10, 0, v0
	s_addc_u32 s4, s9, 0
	s_mov_b32 s5, exec_lo
                                        ; implicit-def: $vgpr4_vgpr5
	ds_load_b64 v[6:7], v238
	ds_load_b64 v[8:9], v10 offset:64800
	s_waitcnt lgkmcnt(0)
	v_add_f64 v[0:1], v[6:7], v[8:9]
	v_add_f64 v[2:3], v[6:7], -v[8:9]
	v_cmpx_ne_u32_e32 0, v120
	s_xor_b32 s5, exec_lo, s5
	s_cbranch_execz .LBB0_17
; %bb.16:
	v_mov_b32_e32 v121, 0
	v_add_f64 v[13:14], v[6:7], v[8:9]
	v_add_f64 v[15:16], v[6:7], -v[8:9]
	s_delay_alu instid0(VALU_DEP_3) | instskip(NEXT) | instid1(VALU_DEP_1)
	v_lshlrev_b64 v[0:1], 4, v[120:121]
	v_add_co_u32 v0, s0, s1, v0
	s_delay_alu instid0(VALU_DEP_1)
	v_add_co_ci_u32_e64 v1, s0, s4, v1, s0
	global_load_b128 v[2:5], v[0:1], off
	ds_load_b64 v[0:1], v10 offset:64808
	ds_load_b64 v[11:12], v238 offset:8
	s_waitcnt lgkmcnt(0)
	v_add_f64 v[6:7], v[0:1], v[11:12]
	v_add_f64 v[0:1], v[11:12], -v[0:1]
	s_waitcnt vmcnt(0)
	v_fma_f64 v[8:9], v[15:16], v[4:5], v[13:14]
	v_fma_f64 v[11:12], -v[15:16], v[4:5], v[13:14]
	s_delay_alu instid0(VALU_DEP_3) | instskip(SKIP_1) | instid1(VALU_DEP_4)
	v_fma_f64 v[13:14], v[6:7], v[4:5], -v[0:1]
	v_fma_f64 v[4:5], v[6:7], v[4:5], v[0:1]
	v_fma_f64 v[0:1], -v[6:7], v[2:3], v[8:9]
	s_delay_alu instid0(VALU_DEP_4) | instskip(NEXT) | instid1(VALU_DEP_4)
	v_fma_f64 v[6:7], v[6:7], v[2:3], v[11:12]
	v_fma_f64 v[8:9], v[15:16], v[2:3], v[13:14]
	s_delay_alu instid0(VALU_DEP_4)
	v_fma_f64 v[2:3], v[15:16], v[2:3], v[4:5]
	v_dual_mov_b32 v4, v120 :: v_dual_mov_b32 v5, v121
	ds_store_b128 v10, v[6:9] offset:64800
.LBB0_17:
	s_and_not1_saveexec_b32 s0, s5
	s_cbranch_execz .LBB0_19
; %bb.18:
	v_mov_b32_e32 v8, 0
	ds_load_b128 v[4:7], v8 offset:32400
	s_waitcnt lgkmcnt(0)
	v_add_f64 v[11:12], v[4:5], v[4:5]
	v_mul_f64 v[13:14], v[6:7], -2.0
	v_mov_b32_e32 v4, 0
	v_mov_b32_e32 v5, 0
	ds_store_b128 v8, v[11:14] offset:32400
.LBB0_19:
	s_or_b32 exec_lo, exec_lo, s0
	v_lshlrev_b64 v[4:5], 4, v[4:5]
	ds_store_b128 v238, v[0:3]
	s_mov_b32 s15, 0x3fee6f0e
	s_mov_b32 s10, 0x4755a5e
	;; [unrolled: 1-line block ×4, first 2 shown]
	v_add_co_u32 v4, s0, s1, v4
	s_delay_alu instid0(VALU_DEP_1) | instskip(SKIP_1) | instid1(VALU_DEP_2)
	v_add_co_ci_u32_e64 v5, s0, s4, v5, s0
	s_mov_b32 s12, s10
	v_add_co_u32 v19, s0, 0x1000, v4
	global_load_b128 v[6:9], v[4:5], off offset:2160
	v_add_co_ci_u32_e64 v20, s0, 0, v5, s0
	s_mov_b32 s4, 0x372fe950
	s_mov_b32 s5, 0x3fd3c6ef
	s_mov_b32 s17, 0xbfd3c6ef
	global_load_b128 v[11:14], v[19:20], off offset:224
	ds_load_b128 v[0:3], v238 offset:2160
	ds_load_b128 v[15:18], v10 offset:62640
	global_load_b128 v[19:22], v[19:20], off offset:2384
	s_mov_b32 s16, s4
	s_mov_b32 s18, 0x9b97f4a8
	;; [unrolled: 1-line block ×5, first 2 shown]
	s_waitcnt lgkmcnt(0)
	v_add_f64 v[23:24], v[0:1], v[15:16]
	v_add_f64 v[25:26], v[17:18], v[2:3]
	v_add_f64 v[27:28], v[0:1], -v[15:16]
	v_add_f64 v[0:1], v[2:3], -v[17:18]
	s_waitcnt vmcnt(2)
	s_delay_alu instid0(VALU_DEP_2) | instskip(NEXT) | instid1(VALU_DEP_2)
	v_fma_f64 v[2:3], v[27:28], v[8:9], v[23:24]
	v_fma_f64 v[15:16], v[25:26], v[8:9], v[0:1]
	v_fma_f64 v[17:18], -v[27:28], v[8:9], v[23:24]
	v_fma_f64 v[8:9], v[25:26], v[8:9], -v[0:1]
	v_add_co_u32 v23, s0, 0x2000, v4
	s_delay_alu instid0(VALU_DEP_1)
	v_add_co_ci_u32_e64 v24, s0, 0, v5, s0
	v_fma_f64 v[0:1], -v[25:26], v[6:7], v[2:3]
	v_fma_f64 v[2:3], v[27:28], v[6:7], v[15:16]
	v_fma_f64 v[15:16], v[25:26], v[6:7], v[17:18]
	v_fma_f64 v[17:18], v[27:28], v[6:7], v[8:9]
	ds_store_b128 v238, v[0:3] offset:2160
	ds_store_b128 v10, v[15:18] offset:62640
	ds_load_b128 v[0:3], v238 offset:4320
	ds_load_b128 v[6:9], v10 offset:60480
	global_load_b128 v[15:18], v[23:24], off offset:448
	s_waitcnt lgkmcnt(0)
	v_add_f64 v[25:26], v[0:1], v[6:7]
	v_add_f64 v[27:28], v[8:9], v[2:3]
	v_add_f64 v[29:30], v[0:1], -v[6:7]
	v_add_f64 v[0:1], v[2:3], -v[8:9]
	s_waitcnt vmcnt(2)
	s_delay_alu instid0(VALU_DEP_2) | instskip(NEXT) | instid1(VALU_DEP_2)
	v_fma_f64 v[2:3], v[29:30], v[13:14], v[25:26]
	v_fma_f64 v[6:7], v[27:28], v[13:14], v[0:1]
	v_fma_f64 v[8:9], -v[29:30], v[13:14], v[25:26]
	v_fma_f64 v[13:14], v[27:28], v[13:14], -v[0:1]
	s_delay_alu instid0(VALU_DEP_4) | instskip(NEXT) | instid1(VALU_DEP_4)
	v_fma_f64 v[0:1], -v[27:28], v[11:12], v[2:3]
	v_fma_f64 v[2:3], v[29:30], v[11:12], v[6:7]
	s_delay_alu instid0(VALU_DEP_4) | instskip(NEXT) | instid1(VALU_DEP_4)
	v_fma_f64 v[6:7], v[27:28], v[11:12], v[8:9]
	v_fma_f64 v[8:9], v[29:30], v[11:12], v[13:14]
	ds_store_b128 v238, v[0:3] offset:4320
	ds_store_b128 v10, v[6:9] offset:60480
	ds_load_b128 v[0:3], v238 offset:6480
	ds_load_b128 v[6:9], v10 offset:58320
	global_load_b128 v[11:14], v[23:24], off offset:2608
	s_waitcnt lgkmcnt(0)
	v_add_f64 v[23:24], v[0:1], v[6:7]
	v_add_f64 v[25:26], v[8:9], v[2:3]
	v_add_f64 v[27:28], v[0:1], -v[6:7]
	v_add_f64 v[0:1], v[2:3], -v[8:9]
	s_waitcnt vmcnt(2)
	s_delay_alu instid0(VALU_DEP_2) | instskip(NEXT) | instid1(VALU_DEP_2)
	v_fma_f64 v[2:3], v[27:28], v[21:22], v[23:24]
	v_fma_f64 v[6:7], v[25:26], v[21:22], v[0:1]
	v_fma_f64 v[8:9], -v[27:28], v[21:22], v[23:24]
	v_fma_f64 v[21:22], v[25:26], v[21:22], -v[0:1]
	v_add_co_u32 v23, s0, 0x3000, v4
	s_delay_alu instid0(VALU_DEP_1)
	v_add_co_ci_u32_e64 v24, s0, 0, v5, s0
	v_fma_f64 v[0:1], -v[25:26], v[19:20], v[2:3]
	v_fma_f64 v[2:3], v[27:28], v[19:20], v[6:7]
	v_fma_f64 v[6:7], v[25:26], v[19:20], v[8:9]
	v_fma_f64 v[8:9], v[27:28], v[19:20], v[21:22]
	ds_store_b128 v238, v[0:3] offset:6480
	ds_store_b128 v10, v[6:9] offset:58320
	ds_load_b128 v[0:3], v238 offset:8640
	ds_load_b128 v[6:9], v10 offset:56160
	global_load_b128 v[19:22], v[23:24], off offset:672
	s_waitcnt lgkmcnt(0)
	v_add_f64 v[25:26], v[0:1], v[6:7]
	v_add_f64 v[27:28], v[8:9], v[2:3]
	v_add_f64 v[29:30], v[0:1], -v[6:7]
	v_add_f64 v[0:1], v[2:3], -v[8:9]
	s_waitcnt vmcnt(2)
	s_delay_alu instid0(VALU_DEP_2) | instskip(NEXT) | instid1(VALU_DEP_2)
	v_fma_f64 v[2:3], v[29:30], v[17:18], v[25:26]
	v_fma_f64 v[6:7], v[27:28], v[17:18], v[0:1]
	v_fma_f64 v[8:9], -v[29:30], v[17:18], v[25:26]
	v_fma_f64 v[17:18], v[27:28], v[17:18], -v[0:1]
	s_delay_alu instid0(VALU_DEP_4) | instskip(NEXT) | instid1(VALU_DEP_4)
	v_fma_f64 v[0:1], -v[27:28], v[15:16], v[2:3]
	v_fma_f64 v[2:3], v[29:30], v[15:16], v[6:7]
	s_delay_alu instid0(VALU_DEP_4) | instskip(NEXT) | instid1(VALU_DEP_4)
	v_fma_f64 v[6:7], v[27:28], v[15:16], v[8:9]
	v_fma_f64 v[8:9], v[29:30], v[15:16], v[17:18]
	ds_store_b128 v238, v[0:3] offset:8640
	ds_store_b128 v10, v[6:9] offset:56160
	ds_load_b128 v[0:3], v238 offset:10800
	ds_load_b128 v[6:9], v10 offset:54000
	global_load_b128 v[15:18], v[23:24], off offset:2832
	;; [unrolled: 45-line block ×4, first 2 shown]
	s_waitcnt lgkmcnt(0)
	v_add_f64 v[23:24], v[0:1], v[6:7]
	v_add_f64 v[25:26], v[8:9], v[2:3]
	v_add_f64 v[27:28], v[0:1], -v[6:7]
	v_add_f64 v[0:1], v[2:3], -v[8:9]
	s_waitcnt vmcnt(2)
	s_delay_alu instid0(VALU_DEP_2) | instskip(NEXT) | instid1(VALU_DEP_2)
	v_fma_f64 v[2:3], v[27:28], v[21:22], v[23:24]
	v_fma_f64 v[6:7], v[25:26], v[21:22], v[0:1]
	v_fma_f64 v[8:9], -v[27:28], v[21:22], v[23:24]
	v_fma_f64 v[21:22], v[25:26], v[21:22], -v[0:1]
	v_add_co_u32 v23, s0, 0x6000, v4
	s_delay_alu instid0(VALU_DEP_1) | instskip(SKIP_1) | instid1(VALU_DEP_1)
	v_add_co_ci_u32_e64 v24, s0, 0, v5, s0
	v_add_co_u32 v4, s0, 0x7000, v4
	v_add_co_ci_u32_e64 v5, s0, 0, v5, s0
	s_mov_b32 s0, 0x134454ff
	s_mov_b32 s1, 0xbfee6f0e
	s_mov_b32 s14, s0
	v_fma_f64 v[0:1], -v[25:26], v[19:20], v[2:3]
	v_fma_f64 v[2:3], v[27:28], v[19:20], v[6:7]
	v_fma_f64 v[6:7], v[25:26], v[19:20], v[8:9]
	;; [unrolled: 1-line block ×3, first 2 shown]
	ds_store_b128 v238, v[0:3] offset:19440
	ds_store_b128 v10, v[6:9] offset:45360
	ds_load_b128 v[0:3], v238 offset:21600
	ds_load_b128 v[6:9], v10 offset:43200
	global_load_b128 v[19:22], v[23:24], off offset:1344
	s_waitcnt lgkmcnt(0)
	v_add_f64 v[25:26], v[0:1], v[6:7]
	v_add_f64 v[27:28], v[8:9], v[2:3]
	v_add_f64 v[29:30], v[0:1], -v[6:7]
	v_add_f64 v[0:1], v[2:3], -v[8:9]
	s_waitcnt vmcnt(2)
	s_delay_alu instid0(VALU_DEP_2) | instskip(NEXT) | instid1(VALU_DEP_2)
	v_fma_f64 v[2:3], v[29:30], v[17:18], v[25:26]
	v_fma_f64 v[6:7], v[27:28], v[17:18], v[0:1]
	v_fma_f64 v[8:9], -v[29:30], v[17:18], v[25:26]
	v_fma_f64 v[17:18], v[27:28], v[17:18], -v[0:1]
	s_delay_alu instid0(VALU_DEP_4) | instskip(NEXT) | instid1(VALU_DEP_4)
	v_fma_f64 v[0:1], -v[27:28], v[15:16], v[2:3]
	v_fma_f64 v[2:3], v[29:30], v[15:16], v[6:7]
	s_delay_alu instid0(VALU_DEP_4) | instskip(NEXT) | instid1(VALU_DEP_4)
	v_fma_f64 v[6:7], v[27:28], v[15:16], v[8:9]
	v_fma_f64 v[8:9], v[29:30], v[15:16], v[17:18]
	ds_store_b128 v238, v[0:3] offset:21600
	ds_store_b128 v10, v[6:9] offset:43200
	ds_load_b128 v[0:3], v238 offset:23760
	ds_load_b128 v[6:9], v10 offset:41040
	global_load_b128 v[15:18], v[23:24], off offset:3504
	s_waitcnt lgkmcnt(0)
	v_add_f64 v[23:24], v[0:1], v[6:7]
	v_add_f64 v[25:26], v[8:9], v[2:3]
	v_add_f64 v[27:28], v[0:1], -v[6:7]
	v_add_f64 v[0:1], v[2:3], -v[8:9]
	s_waitcnt vmcnt(2)
	s_delay_alu instid0(VALU_DEP_2) | instskip(NEXT) | instid1(VALU_DEP_2)
	v_fma_f64 v[2:3], v[27:28], v[13:14], v[23:24]
	v_fma_f64 v[6:7], v[25:26], v[13:14], v[0:1]
	v_fma_f64 v[8:9], -v[27:28], v[13:14], v[23:24]
	v_fma_f64 v[13:14], v[25:26], v[13:14], -v[0:1]
	s_delay_alu instid0(VALU_DEP_4) | instskip(NEXT) | instid1(VALU_DEP_4)
	v_fma_f64 v[0:1], -v[25:26], v[11:12], v[2:3]
	v_fma_f64 v[2:3], v[27:28], v[11:12], v[6:7]
	s_delay_alu instid0(VALU_DEP_4) | instskip(NEXT) | instid1(VALU_DEP_4)
	v_fma_f64 v[6:7], v[25:26], v[11:12], v[8:9]
	v_fma_f64 v[8:9], v[27:28], v[11:12], v[13:14]
	;; [unrolled: 22-line block ×3, first 2 shown]
	ds_store_b128 v238, v[0:3] offset:25920
	ds_store_b128 v10, v[4:7] offset:38880
	ds_load_b128 v[0:3], v238 offset:28080
	ds_load_b128 v[4:7], v10 offset:36720
	s_waitcnt lgkmcnt(0)
	v_add_f64 v[8:9], v[0:1], v[4:5]
	v_add_f64 v[19:20], v[6:7], v[2:3]
	v_add_f64 v[21:22], v[0:1], -v[4:5]
	v_add_f64 v[0:1], v[2:3], -v[6:7]
	s_waitcnt vmcnt(1)
	s_delay_alu instid0(VALU_DEP_2) | instskip(NEXT) | instid1(VALU_DEP_2)
	v_fma_f64 v[2:3], v[21:22], v[17:18], v[8:9]
	v_fma_f64 v[4:5], v[19:20], v[17:18], v[0:1]
	v_fma_f64 v[6:7], -v[21:22], v[17:18], v[8:9]
	v_fma_f64 v[8:9], v[19:20], v[17:18], -v[0:1]
	s_delay_alu instid0(VALU_DEP_4) | instskip(NEXT) | instid1(VALU_DEP_4)
	v_fma_f64 v[0:1], -v[19:20], v[15:16], v[2:3]
	v_fma_f64 v[2:3], v[21:22], v[15:16], v[4:5]
	s_delay_alu instid0(VALU_DEP_4) | instskip(NEXT) | instid1(VALU_DEP_4)
	v_fma_f64 v[4:5], v[19:20], v[15:16], v[6:7]
	v_fma_f64 v[6:7], v[21:22], v[15:16], v[8:9]
	ds_store_b128 v238, v[0:3] offset:28080
	ds_store_b128 v10, v[4:7] offset:36720
	ds_load_b128 v[0:3], v238 offset:30240
	ds_load_b128 v[4:7], v10 offset:34560
	s_waitcnt lgkmcnt(0)
	v_add_f64 v[8:9], v[0:1], v[4:5]
	v_add_f64 v[15:16], v[6:7], v[2:3]
	v_add_f64 v[17:18], v[0:1], -v[4:5]
	v_add_f64 v[0:1], v[2:3], -v[6:7]
	s_waitcnt vmcnt(0)
	s_delay_alu instid0(VALU_DEP_2) | instskip(NEXT) | instid1(VALU_DEP_2)
	v_fma_f64 v[2:3], v[17:18], v[13:14], v[8:9]
	v_fma_f64 v[4:5], v[15:16], v[13:14], v[0:1]
	v_fma_f64 v[6:7], -v[17:18], v[13:14], v[8:9]
	v_fma_f64 v[8:9], v[15:16], v[13:14], -v[0:1]
	s_delay_alu instid0(VALU_DEP_4) | instskip(NEXT) | instid1(VALU_DEP_4)
	v_fma_f64 v[0:1], -v[15:16], v[11:12], v[2:3]
	v_fma_f64 v[2:3], v[17:18], v[11:12], v[4:5]
	s_delay_alu instid0(VALU_DEP_4) | instskip(NEXT) | instid1(VALU_DEP_4)
	v_fma_f64 v[4:5], v[15:16], v[11:12], v[6:7]
	v_fma_f64 v[6:7], v[17:18], v[11:12], v[8:9]
	ds_store_b128 v238, v[0:3] offset:30240
	ds_store_b128 v10, v[4:7] offset:34560
	s_waitcnt lgkmcnt(0)
	s_barrier
	buffer_gl0_inv
	s_barrier
	buffer_gl0_inv
	ds_load_b128 v[48:51], v238
	ds_load_b128 v[52:55], v238 offset:2160
	ds_load_b128 v[80:83], v238 offset:12960
	;; [unrolled: 1-line block ×29, first 2 shown]
	s_waitcnt lgkmcnt(27)
	v_add_f64 v[112:113], v[48:49], v[80:81]
	v_add_f64 v[114:115], v[50:51], v[82:83]
	s_waitcnt lgkmcnt(26)
	v_add_f64 v[142:143], v[54:55], v[78:79]
	s_waitcnt lgkmcnt(24)
	v_add_f64 v[198:199], v[78:79], -v[70:71]
	v_add_f64 v[212:213], v[70:71], -v[78:79]
	s_waitcnt lgkmcnt(20)
	v_add_f64 v[106:107], v[78:79], -v[2:3]
	v_add_f64 v[164:165], v[78:79], v[2:3]
	s_waitcnt lgkmcnt(17)
	v_add_f64 v[126:127], v[64:65], v[98:99]
	v_add_f64 v[140:141], v[52:53], v[76:77]
	;; [unrolled: 1-line block ×4, first 2 shown]
	v_add_f64 v[200:201], v[80:81], -v[84:85]
	s_waitcnt lgkmcnt(7)
	v_add_f64 v[166:167], v[148:149], v[122:123]
	s_waitcnt lgkmcnt(6)
	v_add_f64 v[116:117], v[172:173], v[176:177]
	v_add_f64 v[216:217], v[4:5], -v[8:9]
	v_add_f64 v[134:135], v[86:87], v[10:11]
	v_add_f64 v[228:229], v[82:83], -v[86:87]
	v_add_f64 v[232:233], v[6:7], -v[10:11]
	s_waitcnt lgkmcnt(1)
	v_add_f64 v[192:193], v[124:125], v[38:39]
	v_add_f64 v[136:137], v[82:83], v[6:7]
	;; [unrolled: 1-line block ×3, first 2 shown]
	v_add_f64 v[236:237], v[98:99], -v[88:89]
	v_add_f64 v[146:147], v[90:91], v[30:31]
	v_add_f64 v[152:153], v[100:101], v[22:23]
	v_add_f64 v[245:246], v[20:21], -v[28:29]
	v_add_f64 v[158:159], v[68:69], v[12:13]
	v_add_f64 v[160:161], v[70:71], v[14:15]
	;; [unrolled: 1-line block ×9, first 2 shown]
	v_add_f64 v[230:231], v[86:87], -v[82:83]
	v_add_f64 v[234:235], v[10:11], -v[6:7]
	;; [unrolled: 1-line block ×4, first 2 shown]
	v_add_f64 v[78:79], v[112:113], v[84:85]
	v_add_f64 v[104:105], v[100:101], -v[22:23]
	v_add_f64 v[190:191], v[76:77], -v[68:69]
	;; [unrolled: 1-line block ×4, first 2 shown]
	v_add_f64 v[202:203], v[72:73], v[24:25]
	v_add_f64 v[206:207], v[74:75], v[26:27]
	;; [unrolled: 1-line block ×5, first 2 shown]
	s_waitcnt lgkmcnt(0)
	v_add_f64 v[68:69], v[178:179], v[34:35]
	v_add_f64 v[218:219], v[174:175], v[178:179]
	v_add_f64 v[239:240], v[88:89], -v[98:99]
	v_add_f64 v[204:205], v[60:61], v[16:17]
	v_add_f64 v[92:93], v[86:87], -v[10:11]
	v_add_f64 v[224:225], v[84:85], -v[80:81]
	;; [unrolled: 1-line block ×4, first 2 shown]
	v_add_f64 v[144:145], v[98:99], v[20:21]
	v_add_f64 v[110:111], v[98:99], -v[20:21]
	v_add_f64 v[98:99], v[70:71], -v[14:15]
	v_add_f64 v[170:171], v[150:151], v[124:125]
	v_add_f64 v[208:209], v[122:123], -v[154:155]
	v_add_f64 v[214:215], v[154:155], -v[122:123]
	v_add_f64 v[142:143], v[142:143], v[70:71]
	v_fma_f64 v[112:113], v[134:135], -0.5, v[50:51]
	v_fma_f64 v[134:135], v[138:139], -0.5, v[64:65]
	;; [unrolled: 1-line block ×4, first 2 shown]
	v_add_f64 v[70:71], v[124:125], -v[38:39]
	v_add_f64 v[66:67], v[122:123], -v[36:37]
	v_fma_f64 v[122:123], v[158:159], -0.5, v[52:53]
	v_fma_f64 v[138:139], v[164:165], -0.5, v[54:55]
	v_add_f64 v[84:85], v[60:61], -v[72:73]
	v_add_f64 v[188:189], v[62:63], -v[74:75]
	v_fma_f64 v[158:159], v[182:183], -0.5, v[148:149]
	v_fma_f64 v[164:165], v[184:185], -0.5, v[150:151]
	v_add_f64 v[182:183], v[74:75], -v[62:63]
	scratch_store_b64 off, v[78:79], off offset:8 ; 8-byte Folded Spill
	v_add_f64 v[78:79], v[114:115], v[86:87]
	v_add_f64 v[86:87], v[72:73], -v[60:61]
	v_add_f64 v[184:185], v[194:195], v[72:73]
	v_add_f64 v[94:95], v[82:83], -v[6:7]
	v_add_f64 v[82:83], v[90:91], -v[30:31]
	;; [unrolled: 1-line block ×3, first 2 shown]
	v_add_f64 v[132:133], v[176:177], v[32:33]
	v_fma_f64 v[114:115], v[206:207], -0.5, v[58:59]
	v_fma_f64 v[249:250], v[249:250], -0.5, v[58:59]
	v_add_f64 v[194:195], v[220:221], -v[176:177]
	v_add_f64 v[58:59], v[220:221], -v[40:41]
	;; [unrolled: 1-line block ×4, first 2 shown]
	v_add_f64 v[253:254], v[222:223], v[42:43]
	v_add_f64 v[226:227], v[8:9], -v[4:5]
	v_add_f64 v[108:109], v[76:77], -v[0:1]
	;; [unrolled: 1-line block ×3, first 2 shown]
	v_fma_f64 v[144:145], v[144:145], -0.5, v[64:65]
	v_add_f64 v[64:65], v[154:155], -v[44:45]
	v_add_f64 v[60:61], v[60:61], -v[16:17]
	v_add_f64 v[170:171], v[170:171], v[156:157]
	scratch_store_b64 off, v[78:79], off offset:16 ; 8-byte Folded Spill
	v_add_f64 v[78:79], v[126:127], v[88:89]
	v_fma_f64 v[126:127], v[168:169], -0.5, v[48:49]
	v_add_f64 v[168:169], v[166:167], v[154:155]
	v_fma_f64 v[166:167], v[192:193], -0.5, v[150:151]
	v_add_f64 v[192:193], v[116:117], v[220:221]
	v_add_f64 v[116:117], v[28:29], -v[20:21]
	v_add_f64 v[150:151], v[236:237], v[245:246]
	v_add_f64 v[236:237], v[16:17], -v[24:25]
	v_add_f64 v[88:89], v[128:129], v[90:91]
	v_fma_f64 v[90:91], v[202:203], -0.5, v[56:57]
	v_add_f64 v[202:203], v[176:177], -v[220:221]
	v_add_f64 v[220:221], v[36:37], -v[44:45]
	v_fma_f64 v[128:129], v[204:205], -0.5, v[56:57]
	v_add_f64 v[204:205], v[222:223], -v[178:179]
	v_add_f64 v[56:57], v[222:223], -v[42:43]
	v_fma_f64 v[154:155], v[132:133], -0.5, v[172:173]
	v_add_f64 v[132:133], v[30:31], -v[22:23]
	scratch_store_b64 off, v[78:79], off offset:24 ; 8-byte Folded Spill
	v_fma_f64 v[78:79], v[130:131], -0.5, v[48:49]
	v_fma_f64 v[130:131], v[136:137], -0.5, v[50:51]
	v_add_f64 v[48:49], v[124:125], -v[156:157]
	v_add_f64 v[50:51], v[156:157], -v[124:125]
	v_fma_f64 v[136:137], v[162:163], -0.5, v[52:53]
	v_fma_f64 v[124:125], v[160:161], -0.5, v[54:55]
	v_add_f64 v[160:161], v[74:75], -v[26:27]
	v_fma_f64 v[162:163], v[186:187], -0.5, v[148:149]
	v_add_f64 v[52:53], v[72:73], -v[24:25]
	v_add_f64 v[186:187], v[196:197], v[74:75]
	v_add_f64 v[72:73], v[200:201], v[216:217]
	v_add_f64 v[216:217], v[0:1], -v[12:13]
	v_add_f64 v[74:75], v[228:229], v[232:233]
	v_add_f64 v[228:229], v[38:39], -v[46:47]
	v_fma_f64 v[148:149], v[251:252], -0.5, v[172:173]
	v_fma_f64 v[251:252], v[68:69], -0.5, v[174:175]
	v_add_f64 v[68:69], v[176:177], -v[32:33]
	v_add_f64 v[176:177], v[230:231], v[234:235]
	v_add_f64 v[234:235], v[46:47], -v[38:39]
	v_add_f64 v[196:197], v[218:219], v[222:223]
	v_add_f64 v[218:219], v[2:3], -v[14:15]
	v_add_f64 v[54:55], v[62:63], -v[18:19]
	;; [unrolled: 1-line block ×3, first 2 shown]
	v_add_f64 v[178:179], v[239:240], v[116:117]
	v_add_f64 v[116:117], v[44:45], -v[36:37]
	v_add_f64 v[222:223], v[18:19], -v[26:27]
	v_add_f64 v[208:209], v[208:209], v[220:221]
	v_add_f64 v[172:173], v[241:242], v[247:248]
	v_add_f64 v[232:233], v[12:13], -v[0:1]
	v_add_f64 v[230:231], v[14:15], -v[2:3]
	v_fma_f64 v[156:157], v[253:254], -0.5, v[174:175]
	v_add_f64 v[174:175], v[224:225], v[226:227]
	v_add_f64 v[224:225], v[32:33], -v[40:41]
	v_add_f64 v[200:201], v[243:244], v[132:133]
	v_add_f64 v[226:227], v[34:35], -v[42:43]
	v_add_f64 v[30:31], v[88:89], v[30:31]
	v_add_f64 v[12:13], v[140:141], v[12:13]
	v_fma_f64 v[88:89], v[110:111], s[14:15], v[146:147]
	v_fma_f64 v[140:141], v[104:105], s[0:1], v[134:135]
	v_add_f64 v[14:15], v[142:143], v[14:15]
	v_add_f64 v[44:45], v[168:169], v[44:45]
	;; [unrolled: 1-line block ×3, first 2 shown]
	v_fma_f64 v[170:171], v[102:103], s[0:1], v[152:153]
	v_fma_f64 v[152:153], v[102:103], s[14:15], v[152:153]
	;; [unrolled: 1-line block ×7, first 2 shown]
	v_add_f64 v[190:191], v[190:191], v[216:217]
	v_fma_f64 v[134:135], v[104:105], s[14:15], v[134:135]
	v_add_f64 v[216:217], v[48:49], v[228:229]
	v_add_f64 v[48:49], v[84:85], v[236:237]
	v_add_nc_u32_e32 v84, 0x87, v120
	v_and_b32_e32 v239, 0xff, v120
	v_add_f64 v[228:229], v[24:25], -v[16:17]
	v_add_f64 v[220:221], v[50:51], v[234:235]
	v_add_f64 v[234:235], v[42:43], -v[34:35]
	v_mov_b32_e32 v210, v84
	v_mul_lo_u16 v50, 0xcd, v239
	v_add_f64 v[198:199], v[198:199], v[218:219]
	v_add_f64 v[24:25], v[184:185], v[24:25]
	;; [unrolled: 1-line block ×3, first 2 shown]
	v_dual_mov_b32 v116, v120 :: v_dual_and_b32 v117, 0xffff, v84
	v_lshrrev_b16 v219, 11, v50
	v_add_f64 v[50:51], v[188:189], v[222:223]
	v_add_f64 v[132:133], v[180:181], v[232:233]
	s_delay_alu instid0(VALU_DEP_4)
	v_mul_u32_u24_e32 v117, 0xcccd, v117
	v_mul_u32_u24_e32 v121, 10, v116
	v_mul_lo_u16 v120, v219, 10
	v_add_f64 v[232:233], v[40:41], -v[32:33]
	v_add_f64 v[212:213], v[212:213], v[230:231]
	v_lshrrev_b32_e32 v189, 19, v117
	v_add_f64 v[230:231], v[26:27], -v[18:19]
	v_sub_nc_u16 v120, v116, v120
	v_add_f64 v[26:27], v[186:187], v[26:27]
	v_add_f64 v[84:85], v[202:203], v[224:225]
	;; [unrolled: 1-line block ×4, first 2 shown]
	v_and_b32_e32 v188, 0xff, v120
	v_mov_b32_e32 v248, v116
	scratch_load_b64 v[116:117], off, off offset:8 ; 8-byte Folded Reload
	v_fma_f64 v[196:197], v[66:67], s[14:15], v[164:165]
	v_fma_f64 v[224:225], v[64:65], s[0:1], v[166:167]
	;; [unrolled: 1-line block ×4, first 2 shown]
	v_add_f64 v[180:181], v[206:207], v[226:227]
	v_fma_f64 v[186:187], v[92:93], s[14:15], v[126:127]
	v_fma_f64 v[192:193], v[80:81], s[0:1], v[130:131]
	;; [unrolled: 1-line block ×7, first 2 shown]
	v_add_f64 v[202:203], v[204:205], v[234:235]
	v_fma_f64 v[204:205], v[70:71], s[0:1], v[158:159]
	v_fma_f64 v[124:125], v[108:109], s[0:1], v[124:125]
	v_add_f64 v[22:23], v[30:31], v[22:23]
	v_fma_f64 v[30:31], v[58:59], s[0:1], v[251:252]
	v_fma_f64 v[234:235], v[58:59], s[14:15], v[251:252]
	;; [unrolled: 1-line block ×6, first 2 shown]
	v_add_f64 v[24:25], v[24:25], v[16:17]
	v_fma_f64 v[16:17], v[102:103], s[12:13], v[88:89]
	v_fma_f64 v[158:159], v[70:71], s[14:15], v[158:159]
	v_add_f64 v[14:15], v[14:15], v[2:3]
	v_add_f64 v[194:195], v[194:195], v[232:233]
	v_fma_f64 v[232:233], v[68:69], s[14:15], v[156:157]
	v_fma_f64 v[156:157], v[68:69], s[0:1], v[156:157]
	;; [unrolled: 1-line block ×3, first 2 shown]
	v_add_f64 v[36:37], v[44:45], v[36:37]
	v_add_f64 v[26:27], v[26:27], v[18:19]
	v_fma_f64 v[18:19], v[82:83], s[10:11], v[140:141]
	v_add_f64 v[38:39], v[46:47], v[38:39]
	v_fma_f64 v[44:45], v[52:53], s[0:1], v[249:250]
	v_fma_f64 v[46:47], v[160:161], s[0:1], v[128:129]
	;; [unrolled: 1-line block ×6, first 2 shown]
	v_add_f64 v[32:33], v[40:41], v[32:33]
	v_add_f64 v[34:35], v[42:43], v[34:35]
	v_fma_f64 v[40:41], v[92:93], s[10:11], v[142:143]
	v_fma_f64 v[42:43], v[80:81], s[12:13], v[168:169]
	;; [unrolled: 1-line block ×5, first 2 shown]
	v_add_f64 v[12:13], v[12:13], v[0:1]
	v_fma_f64 v[82:83], v[82:83], s[12:13], v[134:135]
	v_fma_f64 v[134:135], v[66:67], s[12:13], v[224:225]
	v_add_f64 v[86:87], v[86:87], v[228:229]
	v_fma_f64 v[112:113], v[76:77], s[10:11], v[204:205]
	v_fma_f64 v[228:229], v[98:99], s[14:15], v[136:137]
	;; [unrolled: 1-line block ×4, first 2 shown]
	v_add_f64 v[182:183], v[182:183], v[230:231]
	v_fma_f64 v[230:231], v[100:101], s[0:1], v[138:139]
	v_fma_f64 v[138:139], v[100:101], s[14:15], v[138:139]
	;; [unrolled: 1-line block ×29, first 2 shown]
	v_add_f64 v[16:17], v[24:25], v[32:33]
	v_add_f64 v[18:19], v[26:27], v[34:35]
	v_mul_lo_u16 v120, v189, 10
	v_fma_f64 v[146:147], v[106:107], s[10:11], v[228:229]
	v_fma_f64 v[106:107], v[106:107], s[12:13], v[136:137]
	;; [unrolled: 1-line block ×17, first 2 shown]
	s_waitcnt vmcnt(0)
	v_add_f64 v[8:9], v[116:117], v[8:9]
	scratch_load_b64 v[116:117], off, off offset:16 ; 8-byte Folded Reload
	v_add_f64 v[4:5], v[8:9], v[4:5]
	v_fma_f64 v[8:9], v[62:63], s[0:1], v[148:149]
	v_fma_f64 v[148:149], v[62:63], s[14:15], v[148:149]
	;; [unrolled: 1-line block ×3, first 2 shown]
	s_delay_alu instid0(VALU_DEP_3)
	v_fma_f64 v[124:125], v[56:57], s[10:11], v[8:9]
	v_add_f64 v[8:9], v[12:13], v[36:37]
	v_add_f64 v[12:13], v[12:13], -v[36:37]
	v_fma_f64 v[36:37], v[220:221], s[4:5], v[134:135]
	v_fma_f64 v[56:57], v[56:57], s[12:13], v[148:149]
	v_fma_f64 v[134:135], v[214:215], s[4:5], v[144:145]
	v_fma_f64 v[62:63], v[194:195], s[4:5], v[62:63]
	s_delay_alu instid0(VALU_DEP_3)
	v_fma_f64 v[56:57], v[84:85], s[4:5], v[56:57]
	s_waitcnt vmcnt(0)
	v_add_f64 v[10:11], v[116:117], v[10:11]
	scratch_load_b64 v[116:117], off, off offset:24 ; 8-byte Folded Reload
	s_waitcnt vmcnt(0)
	s_waitcnt_vscnt null, 0x0
	s_barrier
	buffer_gl0_inv
	v_add_f64 v[6:7], v[10:11], v[6:7]
	v_fma_f64 v[10:11], v[54:55], s[0:1], v[90:91]
	v_fma_f64 v[90:91], v[54:55], s[14:15], v[90:91]
	;; [unrolled: 1-line block ×3, first 2 shown]
	v_mul_f64 v[128:129], v[92:93], s[10:11]
	v_add_f64 v[2:3], v[6:7], v[22:23]
	v_fma_f64 v[136:137], v[160:161], s[10:11], v[10:11]
	v_add_f64 v[10:11], v[14:15], v[38:39]
	v_add_f64 v[14:15], v[14:15], -v[38:39]
	v_fma_f64 v[38:39], v[220:221], s[4:5], v[66:67]
	v_add_f64 v[6:7], v[6:7], -v[22:23]
	v_add_f64 v[22:23], v[26:27], -v[34:35]
	v_fma_f64 v[26:27], v[180:181], s[4:5], v[122:123]
	v_fma_f64 v[34:35], v[74:75], s[4:5], v[42:43]
	;; [unrolled: 1-line block ×5, first 2 shown]
	v_mul_f64 v[82:83], v[102:103], s[10:11]
	v_mul_f64 v[102:103], v[102:103], s[20:21]
	v_mul_f64 v[140:141], v[36:37], s[0:1]
	v_mul_f64 v[36:37], v[36:37], s[4:5]
	v_fma_f64 v[66:67], v[174:175], s[4:5], v[142:143]
	v_mul_f64 v[150:151], v[30:31], s[0:1]
	v_mul_f64 v[30:31], v[30:31], s[4:5]
	;; [unrolled: 1-line block ×5, first 2 shown]
	v_fma_f64 v[82:83], v[80:81], s[20:21], v[82:83]
	v_fma_f64 v[80:81], v[80:81], s[12:13], v[102:103]
	;; [unrolled: 1-line block ×5, first 2 shown]
	v_add_f64 v[28:29], v[116:117], v[28:29]
	v_lshl_add_u32 v117, v121, 4, 0
	v_lshlrev_b32_e32 v121, 6, v188
	v_add_nc_u32_e32 v250, 0x3b1, v248
	s_delay_alu instid0(VALU_DEP_1)
	v_lshrrev_b16 v243, 1, v250
	v_add_f64 v[20:21], v[28:29], v[20:21]
	v_fma_f64 v[28:29], v[60:61], s[14:15], v[114:115]
	v_fma_f64 v[114:115], v[60:61], s[0:1], v[114:115]
	;; [unrolled: 1-line block ×6, first 2 shown]
	v_mul_f64 v[112:113], v[156:157], s[10:11]
	v_mul_f64 v[160:161], v[58:59], s[10:11]
	;; [unrolled: 1-line block ×3, first 2 shown]
	v_add_f64 v[0:1], v[4:5], v[20:21]
	v_add_f64 v[4:5], v[4:5], -v[20:21]
	v_add_f64 v[20:21], v[24:25], -v[32:33]
	v_fma_f64 v[24:25], v[216:217], s[4:5], v[64:65]
	v_fma_f64 v[32:33], v[72:73], s[4:5], v[40:41]
	;; [unrolled: 1-line block ×6, first 2 shown]
	v_mul_f64 v[114:115], v[162:163], s[12:13]
	v_mul_f64 v[122:123], v[60:61], s[0:1]
	;; [unrolled: 1-line block ×3, first 2 shown]
	v_fma_f64 v[72:73], v[72:73], s[4:5], v[78:79]
	v_mul_f64 v[78:79], v[90:91], s[0:1]
	v_mul_f64 v[90:91], v[90:91], s[16:17]
	v_fma_f64 v[124:125], v[190:191], s[4:5], v[126:127]
	v_fma_f64 v[126:127], v[198:199], s[4:5], v[130:131]
	v_mul_f64 v[130:131], v[110:111], s[12:13]
	v_fma_f64 v[112:113], v[162:163], s[18:19], v[112:113]
	v_fma_f64 v[68:69], v[176:177], s[4:5], v[168:169]
	v_fma_f64 v[160:161], v[56:57], s[20:21], v[160:161]
	v_fma_f64 v[162:163], v[56:57], s[12:13], v[58:59]
	v_mul_f64 v[84:85], v[24:25], s[10:11]
	v_mul_f64 v[24:25], v[24:25], s[20:21]
	;; [unrolled: 1-line block ×5, first 2 shown]
	v_fma_f64 v[102:103], v[50:51], s[4:5], v[28:29]
	v_fma_f64 v[114:115], v[156:157], s[18:19], v[114:115]
	;; [unrolled: 1-line block ×21, first 2 shown]
	v_add_f64 v[28:29], v[32:33], -v[112:113]
	v_add_f64 v[48:49], v[72:73], v[82:83]
	v_add_f64 v[50:51], v[74:75], v[80:81]
	v_add_f64 v[52:53], v[72:73], -v[82:83]
	v_add_f64 v[54:55], v[74:75], -v[80:81]
	;; [unrolled: 1-line block ×3, first 2 shown]
	v_fma_f64 v[84:85], v[76:77], s[20:21], v[84:85]
	v_fma_f64 v[88:89], v[76:77], s[12:13], v[24:25]
	;; [unrolled: 1-line block ×5, first 2 shown]
	v_add_f64 v[24:25], v[32:33], v[112:113]
	v_add_f64 v[26:27], v[34:35], v[114:115]
	v_add_f64 v[30:31], v[34:35], -v[114:115]
	v_add_f64 v[32:33], v[66:67], v[122:123]
	v_add_f64 v[34:35], v[68:69], v[42:43]
	v_add_f64 v[38:39], v[68:69], -v[42:43]
	;; [unrolled: 3-line block ×3, first 2 shown]
	v_add_f64 v[44:45], v[94:95], -v[60:61]
	v_add_f64 v[46:47], v[96:97], -v[78:79]
	v_add_f64 v[56:57], v[124:125], v[104:105]
	v_add_f64 v[58:59], v[126:127], v[92:93]
	;; [unrolled: 1-line block ×6, first 2 shown]
	v_add_f64 v[60:61], v[124:125], -v[104:105]
	v_add_f64 v[62:63], v[126:127], -v[92:93]
	;; [unrolled: 1-line block ×5, first 2 shown]
	v_add_f64 v[96:97], v[110:111], v[150:151]
	v_add_f64 v[92:93], v[100:101], -v[144:145]
	v_add_f64 v[108:109], v[142:143], v[160:161]
	v_add_f64 v[122:123], v[142:143], -v[160:161]
	v_add_f64 v[124:125], v[156:157], -v[162:163]
	v_add_nc_u32_e32 v126, 0x438, v248
	s_delay_alu instid0(VALU_DEP_1)
	v_mov_b32_e32 v253, v126
	v_add_f64 v[80:81], v[90:91], v[84:85]
	v_add_f64 v[82:83], v[98:99], v[88:89]
	v_add_f64 v[84:85], v[90:91], -v[84:85]
	v_add_f64 v[86:87], v[98:99], -v[88:89]
	v_add_f64 v[88:89], v[100:101], v[144:145]
	v_add_f64 v[90:91], v[102:103], v[148:149]
	;; [unrolled: 1-line block ×5, first 2 shown]
	v_add_f64 v[100:101], v[110:111], -v[150:151]
	v_add_f64 v[110:111], v[156:157], v[162:163]
	v_add_f64 v[94:95], v[102:103], -v[148:149]
	v_add_f64 v[102:103], v[128:129], -v[138:139]
	;; [unrolled: 1-line block ×4, first 2 shown]
	ds_store_b128 v117, v[0:3]
	ds_store_b128 v117, v[24:27] offset:16
	ds_store_b128 v117, v[32:35] offset:32
	;; [unrolled: 1-line block ×29, first 2 shown]
	v_add_nc_u32_e32 v34, 0x21c, v248
	s_waitcnt lgkmcnt(0)
	s_barrier
	buffer_gl0_inv
	global_load_b128 v[0:3], v121, s[8:9]
	v_dual_mov_b32 v40, v34 :: v_dual_and_b32 v37, 0xffff, v34
	v_add_nc_u32_e32 v116, 0x10e, v248
	v_sub_nc_u16 v5, v210, v120
	v_mov_b32_e32 v246, v210
	global_load_b128 v[8:11], v121, s[8:9] offset:16
	v_mov_b32_e32 v117, v40
	v_dual_mov_b32 v122, v116 :: v_dual_add_nc_u32 v17, 0x195, v248
	v_and_b32_e32 v4, 0xffff, v116
	v_and_b32_e32 v129, 0xffff, v5
	v_mul_u32_u24_e32 v37, 0xcccd, v37
	s_delay_alu instid0(VALU_DEP_4)
	v_mov_b32_e32 v33, v17
	v_mov_b32_e32 v249, v122
	v_mul_u32_u24_e32 v12, 0xcccd, v4
	global_load_b128 v[4:7], v121, s[8:9] offset:32
	v_dual_mov_b32 v123, v33 :: v_dual_and_b32 v16, 0xffff, v17
	v_lshlrev_b32_e32 v28, 6, v129
	v_lshrrev_b32_e32 v132, 19, v12
	global_load_b128 v[12:15], v121, s[8:9] offset:48
	v_mul_u32_u24_e32 v16, 0xcccd, v16
	v_mov_b32_e32 v127, v123
	s_clause 0x1
	global_load_b128 v[24:27], v28, s[8:9]
	global_load_b128 v[20:23], v28, s[8:9] offset:16
	v_mul_lo_u16 v17, v132, 10
	v_lshrrev_b32_e32 v131, 19, v16
	v_lshrrev_b32_e32 v135, 19, v37
	v_dual_mov_b32 v128, v117 :: v_dual_add_nc_u32 v125, 0x4bf, v248
	s_delay_alu instid0(VALU_DEP_4) | instskip(NEXT) | instid1(VALU_DEP_4)
	v_sub_nc_u16 v17, v116, v17
	v_mul_lo_u16 v32, v131, 10
	v_add_nc_u32_e32 v116, 0x2a3, v248
	s_delay_alu instid0(VALU_DEP_4)
	v_mov_b32_e32 v252, v125
	v_mul_lo_u16 v39, v135, 10
	v_and_b32_e32 v130, 0xffff, v17
	global_load_b128 v[16:19], v28, s[8:9] offset:32
	v_sub_nc_u16 v38, v33, v32
	v_mul_lo_u16 v120, v239, 41
	v_add_nc_u32_e32 v251, 0x32a, v248
	v_lshlrev_b32_e32 v36, 6, v130
	v_lshrrev_b16 v244, 1, v126
	v_and_b32_e32 v133, 0xffff, v38
	v_and_b32_e32 v38, 0xffff, v116
	v_lshrrev_b16 v241, 1, v116
	s_clause 0x2
	global_load_b128 v[32:35], v36, s[8:9]
	global_load_b128 v[28:31], v28, s[8:9] offset:48
	global_load_b128 v[76:79], v36, s[8:9] offset:16
	v_lshlrev_b32_e32 v37, 6, v133
	s_clause 0x1
	global_load_b128 v[72:75], v36, s[8:9] offset:32
	global_load_b128 v[64:67], v36, s[8:9] offset:48
	v_mul_u32_u24_e32 v38, 0xcccd, v38
	v_lshrrev_b16 v245, 1, v125
	s_clause 0x2
	global_load_b128 v[80:83], v37, s[8:9]
	global_load_b128 v[60:63], v37, s[8:9] offset:16
	global_load_b128 v[56:59], v37, s[8:9] offset:32
	v_lshrrev_b32_e32 v136, 19, v38
	v_sub_nc_u16 v38, v40, v39
	v_lshrrev_b16 v121, 1, v246
	v_and_b32_e32 v125, 0xffff, v243
	v_and_b32_e32 v255, 0xffff, v244
	v_mul_lo_u16 v39, v136, 10
	v_and_b32_e32 v134, 0xffff, v38
	v_lshlrev_b32_e32 v243, 4, v129
	v_and_b32_e32 v117, 0xffff, v241
	v_mul_u32_u24_e32 v241, 0x320, v135
	v_sub_nc_u16 v36, v116, v39
	v_lshlrev_b32_e32 v38, 6, v134
	s_clause 0x1
	global_load_b128 v[52:55], v37, s[8:9] offset:48
	global_load_b128 v[48:51], v38, s[8:9]
	v_and_b32_e32 v137, 0xffff, v36
	s_clause 0x1
	global_load_b128 v[44:47], v38, s[8:9] offset:16
	global_load_b128 v[40:43], v38, s[8:9] offset:32
	v_lshrrev_b16 v122, 1, v249
	v_lshrrev_b16 v123, 1, v127
	;; [unrolled: 1-line block ×3, first 2 shown]
	v_lshlrev_b32_e32 v92, 6, v137
	s_clause 0x4
	global_load_b128 v[36:39], v38, s[8:9] offset:48
	global_load_b128 v[68:71], v92, s[8:9]
	global_load_b128 v[84:87], v92, s[8:9] offset:16
	global_load_b128 v[88:91], v92, s[8:9] offset:32
	;; [unrolled: 1-line block ×3, first 2 shown]
	ds_load_b128 v[112:115], v238 offset:12960
	ds_load_b128 v[108:111], v238 offset:25920
	;; [unrolled: 1-line block ×8, first 2 shown]
	s_clause 0x1
	scratch_store_b32 off, v249, off offset:68
	scratch_store_b32 off, v127, off offset:16
	ds_load_b128 v[150:153], v238 offset:17280
	ds_load_b128 v[154:157], v238 offset:19440
	;; [unrolled: 1-line block ×12, first 2 shown]
	v_and_b32_e32 v126, 0xffff, v210
	s_delay_alu instid0(VALU_DEP_1)
	v_mul_u32_u24_e32 v210, 0x147b, v126
	s_waitcnt vmcnt(23) lgkmcnt(19)
	v_mul_f64 v[186:187], v[114:115], v[2:3]
	v_mul_f64 v[2:3], v[112:113], v[2:3]
	s_waitcnt vmcnt(22) lgkmcnt(18)
	v_mul_f64 v[202:203], v[110:111], v[10:11]
	v_mul_f64 v[10:11], v[108:109], v[10:11]
	;; [unrolled: 3-line block ×7, first 2 shown]
	v_fma_f64 v[112:113], v[112:113], v[0:1], v[186:187]
	v_fma_f64 v[114:115], v[114:115], v[0:1], -v[2:3]
	v_fma_f64 v[202:203], v[108:109], v[8:9], v[202:203]
	v_fma_f64 v[10:11], v[110:111], v[8:9], -v[10:11]
	s_waitcnt vmcnt(16) lgkmcnt(11)
	v_mul_f64 v[186:187], v[152:153], v[34:35]
	v_mul_f64 v[34:35], v[150:151], v[34:35]
	s_waitcnt vmcnt(15)
	v_mul_f64 v[220:221], v[148:149], v[30:31]
	v_mul_f64 v[30:31], v[146:147], v[30:31]
	s_waitcnt vmcnt(14) lgkmcnt(9)
	v_mul_f64 v[222:223], v[160:161], v[78:79]
	v_mul_f64 v[78:79], v[158:159], v[78:79]
	ds_load_b128 v[0:3], v238 offset:47520
	ds_load_b128 v[6:9], v238 offset:49680
	v_fma_f64 v[204:205], v[104:105], v[4:5], v[204:205]
	v_fma_f64 v[4:5], v[106:107], v[4:5], -v[206:207]
	ds_load_b128 v[104:107], v238 offset:60480
	ds_load_b128 v[108:111], v238 offset:62640
	v_fma_f64 v[100:101], v[100:101], v[12:13], v[208:209]
	v_fma_f64 v[102:103], v[102:103], v[12:13], -v[14:15]
	s_waitcnt vmcnt(11)
	v_mul_f64 v[12:13], v[156:157], v[82:83]
	v_mul_f64 v[14:15], v[154:155], v[82:83]
	v_fma_f64 v[206:207], v[98:99], v[24:25], -v[26:27]
	s_waitcnt lgkmcnt(11)
	v_mul_f64 v[26:27], v[168:169], v[74:75]
	v_fma_f64 v[82:83], v[96:97], v[24:25], v[211:212]
	v_mul_f64 v[74:75], v[166:167], v[74:75]
	v_fma_f64 v[138:139], v[138:139], v[20:21], v[213:214]
	v_fma_f64 v[20:21], v[140:141], v[20:21], -v[215:216]
	s_waitcnt lgkmcnt(9)
	v_mul_f64 v[140:141], v[176:177], v[66:67]
	v_mul_f64 v[66:67], v[174:175], v[66:67]
	s_waitcnt vmcnt(10)
	v_mul_f64 v[208:209], v[164:165], v[62:63]
	v_mul_f64 v[62:63], v[162:163], v[62:63]
	s_waitcnt vmcnt(8) lgkmcnt(8)
	v_mul_f64 v[211:212], v[180:181], v[54:55]
	v_mul_f64 v[54:55], v[178:179], v[54:55]
	v_fma_f64 v[142:143], v[142:143], v[16:17], v[217:218]
	v_fma_f64 v[144:145], v[144:145], v[16:17], -v[18:19]
	v_mul_f64 v[16:17], v[172:173], v[58:59]
	v_mul_f64 v[18:19], v[170:171], v[58:59]
	ds_load_b128 v[22:25], v238
	ds_load_b128 v[96:99], v238 offset:2160
	s_waitcnt vmcnt(7) lgkmcnt(9)
	v_mul_f64 v[213:214], v[184:185], v[50:51]
	v_mul_f64 v[50:51], v[182:183], v[50:51]
	s_waitcnt vmcnt(6) lgkmcnt(7)
	v_mul_f64 v[215:216], v[196:197], v[46:47]
	v_mul_f64 v[46:47], v[194:195], v[46:47]
	v_fma_f64 v[150:151], v[150:151], v[32:33], v[186:187]
	v_fma_f64 v[34:35], v[152:153], v[32:33], -v[34:35]
	v_fma_f64 v[146:147], v[146:147], v[28:29], v[220:221]
	v_fma_f64 v[148:149], v[148:149], v[28:29], -v[30:31]
	s_waitcnt vmcnt(4) lgkmcnt(3)
	v_mul_f64 v[186:187], v[106:107], v[38:39]
	v_mul_f64 v[38:39], v[104:105], v[38:39]
	v_fma_f64 v[158:159], v[158:159], v[76:77], v[222:223]
	v_fma_f64 v[76:77], v[160:161], v[76:77], -v[78:79]
	s_waitcnt vmcnt(3)
	v_mul_f64 v[78:79], v[192:193], v[70:71]
	v_mul_f64 v[152:153], v[2:3], v[42:43]
	;; [unrolled: 1-line block ×4, first 2 shown]
	s_waitcnt vmcnt(2)
	v_mul_f64 v[160:161], v[200:201], v[86:87]
	v_mul_f64 v[86:87], v[198:199], v[86:87]
	ds_load_b128 v[30:33], v238 offset:6480
	v_fma_f64 v[154:155], v[154:155], v[80:81], v[12:13]
	v_fma_f64 v[80:81], v[156:157], v[80:81], -v[14:15]
	s_waitcnt vmcnt(1)
	v_mul_f64 v[14:15], v[6:7], v[90:91]
	v_fma_f64 v[156:157], v[166:167], v[72:73], v[26:27]
	ds_load_b128 v[26:29], v238 offset:4320
	s_waitcnt lgkmcnt(3)
	v_add_f64 v[166:167], v[22:23], v[112:113]
	v_mul_f64 v[12:13], v[8:9], v[90:91]
	s_waitcnt vmcnt(0)
	v_mul_f64 v[90:91], v[110:111], v[94:95]
	v_mul_f64 v[94:95], v[108:109], v[94:95]
	v_fma_f64 v[72:73], v[168:169], v[72:73], -v[74:75]
	v_fma_f64 v[74:75], v[174:175], v[64:65], v[140:141]
	v_fma_f64 v[66:67], v[176:177], v[64:65], -v[66:67]
	v_fma_f64 v[140:141], v[162:163], v[60:61], v[208:209]
	v_fma_f64 v[162:163], v[164:165], v[60:61], -v[62:63]
	v_add_f64 v[168:169], v[24:25], v[114:115]
	ds_load_b128 v[58:61], v238 offset:8640
	ds_load_b128 v[62:65], v238 offset:10800
	v_fma_f64 v[164:165], v[170:171], v[56:57], v[16:17]
	v_fma_f64 v[56:57], v[172:173], v[56:57], -v[18:19]
	v_fma_f64 v[170:171], v[178:179], v[52:53], v[211:212]
	s_waitcnt lgkmcnt(4)
	v_add_f64 v[172:173], v[96:97], v[82:83]
	v_fma_f64 v[52:53], v[180:181], v[52:53], -v[54:55]
	v_add_f64 v[54:55], v[98:99], v[206:207]
	v_fma_f64 v[174:175], v[182:183], v[48:49], v[213:214]
	v_fma_f64 v[48:49], v[184:185], v[48:49], -v[50:51]
	s_waitcnt lgkmcnt(2)
	v_add_f64 v[176:177], v[26:27], v[150:151]
	v_add_f64 v[178:179], v[28:29], v[34:35]
	v_fma_f64 v[50:51], v[194:195], v[44:45], v[215:216]
	v_fma_f64 v[16:17], v[104:105], v[36:37], v[186:187]
	v_fma_f64 v[18:19], v[106:107], v[36:37], -v[38:39]
	v_fma_f64 v[44:45], v[196:197], v[44:45], -v[46:47]
	v_add_f64 v[104:105], v[10:11], -v[4:5]
	v_fma_f64 v[36:37], v[190:191], v[68:69], v[78:79]
	v_fma_f64 v[46:47], v[0:1], v[40:41], v[152:153]
	v_fma_f64 v[40:41], v[2:3], v[40:41], -v[42:43]
	v_fma_f64 v[38:39], v[192:193], v[68:69], -v[70:71]
	v_fma_f64 v[42:43], v[198:199], v[84:85], v[160:161]
	v_fma_f64 v[68:69], v[200:201], v[84:85], -v[86:87]
	v_add_f64 v[0:1], v[112:113], v[100:101]
	v_add_f64 v[2:3], v[114:115], v[102:103]
	v_add_f64 v[106:107], v[114:115], -v[102:103]
	v_fma_f64 v[78:79], v[8:9], v[88:89], -v[14:15]
	v_add_f64 v[152:153], v[10:11], v[4:5]
	v_add_f64 v[186:187], v[82:83], v[146:147]
	;; [unrolled: 1-line block ×3, first 2 shown]
	v_fma_f64 v[70:71], v[6:7], v[88:89], v[12:13]
	v_fma_f64 v[12:13], v[108:109], v[92:93], v[90:91]
	v_fma_f64 v[14:15], v[110:111], v[92:93], -v[94:95]
	v_add_f64 v[92:93], v[10:11], -v[114:115]
	v_add_f64 v[6:7], v[202:203], v[204:205]
	v_add_f64 v[114:115], v[114:115], -v[10:11]
	v_add_f64 v[190:191], v[206:207], v[148:149]
	v_add_f64 v[194:195], v[138:139], v[142:143]
	;; [unrolled: 1-line block ×5, first 2 shown]
	v_add_f64 v[88:89], v[202:203], -v[112:113]
	v_add_f64 v[108:109], v[202:203], -v[204:205]
	v_add_f64 v[166:167], v[172:173], v[138:139]
	v_add_f64 v[110:111], v[112:113], -v[100:101]
	v_add_f64 v[10:11], v[54:55], v[20:21]
	v_add_f64 v[112:113], v[112:113], -v[202:203]
	v_add_f64 v[172:173], v[138:139], -v[82:83]
	v_add_f64 v[176:177], v[176:177], v[158:159]
	v_add_f64 v[178:179], v[178:179], v[76:77]
	;; [unrolled: 1-line block ×3, first 2 shown]
	v_add_f64 v[200:201], v[138:139], -v[142:143]
	v_add_f64 v[202:203], v[158:159], v[156:157]
	v_add_f64 v[208:209], v[76:77], v[72:73]
	;; [unrolled: 1-line block ×4, first 2 shown]
	v_add_f64 v[215:216], v[82:83], -v[146:147]
	v_add_f64 v[138:139], v[82:83], -v[138:139]
	v_add_f64 v[82:83], v[140:141], v[164:165]
	v_add_f64 v[217:218], v[162:163], v[56:57]
	;; [unrolled: 1-line block ×4, first 2 shown]
	v_add_f64 v[90:91], v[204:205], -v[100:101]
	v_add_f64 v[94:95], v[4:5], -v[102:103]
	;; [unrolled: 1-line block ×5, first 2 shown]
	v_add_f64 v[8:9], v[8:9], v[204:205]
	v_add_f64 v[182:183], v[20:21], -v[206:207]
	v_add_f64 v[184:185], v[144:145], -v[148:149]
	;; [unrolled: 1-line block ×7, first 2 shown]
	v_add_f64 v[204:205], v[50:51], v[46:47]
	v_add_f64 v[4:5], v[160:161], v[4:5]
	;; [unrolled: 1-line block ×4, first 2 shown]
	v_fma_f64 v[234:235], v[0:1], -0.5, v[22:23]
	v_fma_f64 v[236:237], v[2:3], -0.5, v[24:25]
	v_add_f64 v[142:143], v[166:167], v[142:143]
	v_add_f64 v[166:167], v[174:175], v[16:17]
	;; [unrolled: 1-line block ×3, first 2 shown]
	v_fma_f64 v[24:25], v[152:153], -0.5, v[24:25]
	v_add_f64 v[152:153], v[68:69], v[78:79]
	v_add_f64 v[0:1], v[176:177], v[156:157]
	;; [unrolled: 1-line block ×3, first 2 shown]
	v_fma_f64 v[176:177], v[6:7], -0.5, v[22:23]
	v_add_f64 v[22:23], v[42:43], v[70:71]
	v_fma_f64 v[178:179], v[186:187], -0.5, v[96:97]
	v_fma_f64 v[186:187], v[190:191], -0.5, v[98:99]
	;; [unrolled: 1-line block ×3, first 2 shown]
	v_add_f64 v[190:191], v[36:37], v[12:13]
	v_add_f64 v[194:195], v[38:39], v[14:15]
	;; [unrolled: 1-line block ×3, first 2 shown]
	v_add_f64 v[226:227], v[150:151], -v[158:159]
	v_add_f64 v[228:229], v[74:75], -v[156:157]
	;; [unrolled: 1-line block ×3, first 2 shown]
	v_fma_f64 v[98:99], v[196:197], -0.5, v[98:99]
	v_fma_f64 v[196:197], v[202:203], -0.5, v[26:27]
	;; [unrolled: 1-line block ×5, first 2 shown]
	v_add_f64 v[208:209], v[66:67], -v[72:73]
	v_add_f64 v[211:212], v[34:35], -v[66:67]
	v_fma_f64 v[213:214], v[82:83], -0.5, v[30:31]
	v_fma_f64 v[217:218], v[217:218], -0.5, v[32:33]
	;; [unrolled: 1-line block ×4, first 2 shown]
	v_add_f64 v[220:221], v[76:77], -v[72:73]
	v_add_f64 v[222:223], v[150:151], -v[74:75]
	;; [unrolled: 1-line block ×8, first 2 shown]
	v_add_f64 v[8:9], v[8:9], v[100:101]
	v_add_f64 v[100:101], v[170:171], -v[164:165]
	v_add_f64 v[84:85], v[84:85], v[140:141]
	v_add_f64 v[10:11], v[4:5], v[102:103]
	v_add_f64 v[102:103], v[80:81], -v[162:163]
	v_add_f64 v[4:5], v[142:143], v[146:147]
	v_add_f64 v[6:7], v[144:145], v[148:149]
	v_add_f64 v[142:143], v[52:53], -v[56:57]
	v_add_f64 v[144:145], v[140:141], -v[154:155]
	v_add_f64 v[0:1], v[0:1], v[74:75]
	v_add_f64 v[2:3], v[2:3], v[66:67]
	v_add_f64 v[66:67], v[162:163], -v[80:81]
	s_waitcnt lgkmcnt(1)
	v_add_f64 v[74:75], v[58:59], v[174:175]
	v_fma_f64 v[146:147], v[204:205], -0.5, v[58:59]
	v_fma_f64 v[148:149], v[160:161], -0.5, v[60:61]
	;; [unrolled: 1-line block ×4, first 2 shown]
	s_waitcnt lgkmcnt(0)
	v_add_f64 v[166:167], v[62:63], v[36:37]
	v_fma_f64 v[204:205], v[22:23], -0.5, v[62:63]
	v_fma_f64 v[152:153], v[152:153], -0.5, v[64:65]
	;; [unrolled: 1-line block ×4, first 2 shown]
	v_add_f64 v[22:23], v[64:65], v[38:39]
	v_add_f64 v[64:65], v[164:165], -v[170:171]
	v_add_f64 v[194:195], v[88:89], v[90:91]
	v_add_f64 v[88:89], v[56:57], -v[52:53]
	v_add_f64 v[232:233], v[92:93], v[94:95]
	v_add_f64 v[92:93], v[174:175], -v[50:51]
	v_add_f64 v[94:95], v[16:17], -v[46:47]
	v_add_f64 v[60:61], v[60:61], v[48:49]
	v_add_f64 v[162:163], v[162:163], -v[56:57]
	v_add_f64 v[56:57], v[86:87], v[56:57]
	v_add_f64 v[54:55], v[112:113], v[54:55]
	v_add_f64 v[112:113], v[114:115], v[168:169]
	v_add_f64 v[114:115], v[172:173], v[180:181]
	v_add_f64 v[168:169], v[182:183], v[184:185]
	v_add_f64 v[172:173], v[48:49], -v[44:45]
	v_add_f64 v[138:139], v[138:139], v[206:207]
	v_add_f64 v[180:181], v[18:19], -v[40:41]
	v_add_f64 v[182:183], v[20:21], v[224:225]
	v_add_f64 v[20:21], v[50:51], -v[174:175]
	v_add_f64 v[206:207], v[46:47], -v[16:17]
	;; [unrolled: 1-line block ×3, first 2 shown]
	v_add_f64 v[164:165], v[84:85], v[164:165]
	v_add_f64 v[72:73], v[34:35], v[72:73]
	v_add_f64 v[34:35], v[38:39], -v[68:69]
	v_add_f64 v[100:101], v[156:157], v[100:101]
	v_add_f64 v[156:157], v[14:15], -v[78:79]
	v_add_f64 v[184:185], v[226:227], v[228:229]
	v_add_f64 v[208:209], v[230:231], v[208:209]
	v_add_f64 v[226:227], v[36:37], -v[42:43]
	v_add_f64 v[228:229], v[12:13], -v[70:71]
	v_add_f64 v[102:103], v[102:103], v[142:143]
	v_add_f64 v[142:143], v[42:43], -v[36:37]
	v_add_f64 v[74:75], v[74:75], v[50:51]
	v_add_f64 v[80:81], v[80:81], -v[52:53]
	v_add_f64 v[224:225], v[44:45], -v[48:49]
	v_add_f64 v[76:77], v[150:151], v[76:77]
	v_add_f64 v[150:151], v[40:41], -v[18:19]
	v_add_f64 v[154:155], v[154:155], -v[170:171]
	v_add_f64 v[50:51], v[50:51], -v[46:47]
	v_add_f64 v[144:145], v[144:145], v[64:65]
	v_add_f64 v[64:65], v[70:71], -v[12:13]
	v_add_f64 v[230:231], v[66:67], v[88:89]
	v_add_f64 v[66:67], v[68:69], -v[38:39]
	v_add_f64 v[48:49], v[48:49], -v[18:19]
	v_add_f64 v[239:240], v[92:93], v[94:95]
	v_add_f64 v[92:93], v[78:79], -v[14:15]
	v_add_f64 v[60:61], v[60:61], v[44:45]
	v_add_f64 v[94:95], v[166:167], v[42:43]
	;; [unrolled: 1-line block ×4, first 2 shown]
	v_fma_f64 v[52:53], v[108:109], s[0:1], v[236:237]
	v_fma_f64 v[56:57], v[108:109], s[14:15], v[236:237]
	v_add_f64 v[44:45], v[44:45], -v[40:41]
	v_add_f64 v[42:43], v[42:43], -v[70:71]
	v_add_f64 v[172:173], v[172:173], v[180:181]
	v_add_f64 v[68:69], v[68:69], -v[78:79]
	v_add_f64 v[38:39], v[38:39], -v[14:15]
	v_add_f64 v[180:181], v[20:21], v[206:207]
	v_fma_f64 v[206:207], v[104:105], s[14:15], v[234:235]
	v_add_f64 v[20:21], v[164:165], v[170:171]
	v_fma_f64 v[170:171], v[106:107], s[0:1], v[176:177]
	v_fma_f64 v[176:177], v[106:107], s[14:15], v[176:177]
	v_add_f64 v[36:37], v[36:37], -v[12:13]
	v_add_f64 v[156:157], v[34:35], v[156:157]
	v_fma_f64 v[34:35], v[110:111], s[14:15], v[24:25]
	v_fma_f64 v[24:25], v[110:111], s[0:1], v[24:25]
	v_and_b32_e32 v87, 0xffff, v219
	v_add_f64 v[164:165], v[226:227], v[228:229]
	v_lshrrev_b16 v83, 11, v120
	v_and_b32_e32 v120, 0xffff, v121
	v_add_f64 v[46:47], v[74:75], v[46:47]
	v_fma_f64 v[74:75], v[200:201], s[0:1], v[186:187]
	v_mov_b32_e32 v90, v128
	v_lshrrev_b16 v242, 1, v251
	v_add_f64 v[150:151], v[224:225], v[150:151]
	v_fma_f64 v[224:225], v[104:105], s[0:1], v[234:235]
	v_mul_u32_u24_e32 v120, 0x147b, v120
	v_mov_b32_e32 v89, 0
	v_add_f64 v[226:227], v[142:143], v[64:65]
	v_fma_f64 v[64:65], v[192:193], s[14:15], v[178:179]
	v_add_f64 v[142:143], v[174:175], -v[16:17]
	v_fma_f64 v[174:175], v[211:212], s[14:15], v[196:197]
	v_lshlrev_b32_e32 v244, 4, v130
	v_add_f64 v[228:229], v[66:67], v[92:93]
	v_fma_f64 v[66:67], v[192:193], s[0:1], v[178:179]
	v_fma_f64 v[92:93], v[200:201], s[14:15], v[186:187]
	v_add_f64 v[40:41], v[60:61], v[40:41]
	v_fma_f64 v[60:61], v[198:199], s[0:1], v[96:97]
	v_fma_f64 v[96:97], v[198:199], s[14:15], v[96:97]
	;; [unrolled: 3-line block ×4, first 2 shown]
	v_fma_f64 v[196:197], v[222:223], s[0:1], v[202:203]
	v_fma_f64 v[52:53], v[110:111], s[12:13], v[52:53]
	;; [unrolled: 1-line block ×16, first 2 shown]
	v_mul_u32_u24_e32 v237, 0x320, v132
	v_and_b32_e32 v124, 0xffff, v242
	v_fma_f64 v[106:107], v[106:107], s[12:13], v[224:225]
	v_mul_u32_u24_e32 v225, 0x320, v189
	v_and_b32_e32 v85, 0xffff, v245
	v_mul_u32_u24_e32 v242, 0x320, v136
	v_fma_f64 v[64:65], v[198:199], s[10:11], v[64:65]
	v_mov_b32_e32 v84, v246
	v_fma_f64 v[174:175], v[220:221], s[12:13], v[174:175]
	v_lshlrev_b32_e32 v245, 4, v133
	v_lshlrev_b32_e32 v246, 4, v134
	v_fma_f64 v[66:67], v[198:199], s[12:13], v[66:67]
	v_fma_f64 v[198:199], v[154:155], s[14:15], v[217:218]
	;; [unrolled: 1-line block ×34, first 2 shown]
	v_lshlrev_b32_e32 v95, 4, v188
	v_fma_f64 v[34:35], v[112:113], s[4:5], v[34:35]
	v_add_f64 v[18:19], v[40:41], v[18:19]
	v_fma_f64 v[40:41], v[114:115], s[4:5], v[64:65]
	v_add_f64 v[16:17], v[46:47], v[16:17]
	v_fma_f64 v[198:199], v[140:141], s[12:13], v[198:199]
	v_fma_f64 v[140:141], v[140:141], s[10:11], v[206:207]
	;; [unrolled: 1-line block ×7, first 2 shown]
	v_lshrrev_b32_e32 v93, 17, v120
	v_mul_u32_u24_e32 v120, 0x320, v131
	v_fma_f64 v[131:132], v[154:155], s[10:11], v[32:33]
	v_fma_f64 v[133:134], v[44:45], s[10:11], v[200:201]
	;; [unrolled: 1-line block ×6, first 2 shown]
	v_mul_u32_u24_e32 v87, 0x320, v87
	v_fma_f64 v[64:65], v[76:77], s[4:5], v[110:111]
	v_fma_f64 v[196:197], v[142:143], s[12:13], v[26:27]
	v_fma_f64 v[191:192], v[48:49], s[12:13], v[58:59]
	v_fma_f64 v[142:143], v[142:143], s[10:11], v[160:161]
	v_fma_f64 v[146:147], v[44:45], s[12:13], v[146:147]
	v_fma_f64 v[148:149], v[50:51], s[10:11], v[148:149]
	v_fma_f64 v[26:27], v[232:233], s[4:5], v[52:53]
	v_fma_f64 v[48:49], v[138:139], s[4:5], v[60:61]
	v_fma_f64 v[50:51], v[182:183], s[4:5], v[215:216]
	v_fma_f64 v[160:161], v[68:69], s[10:11], v[28:29]
	v_fma_f64 v[28:29], v[194:195], s[4:5], v[106:107]
	v_fma_f64 v[200:201], v[42:43], s[12:13], v[24:25]
	v_fma_f64 v[24:25], v[194:195], s[4:5], v[178:179]
	v_fma_f64 v[202:203], v[68:69], s[12:13], v[202:203]
	v_fma_f64 v[204:205], v[38:39], s[10:11], v[204:205]
	v_fma_f64 v[217:218], v[38:39], s[12:13], v[62:63]
	v_fma_f64 v[152:153], v[42:43], s[10:11], v[152:153]
	v_fma_f64 v[38:39], v[112:113], s[4:5], v[108:109]
	v_fma_f64 v[42:43], v[168:169], s[4:5], v[74:75]
	v_fma_f64 v[44:45], v[114:115], s[4:5], v[66:67]
	v_fma_f64 v[52:53], v[138:139], s[4:5], v[96:97]
	v_fma_f64 v[58:59], v[208:209], s[4:5], v[186:187]
	v_fma_f64 v[66:67], v[72:73], s[4:5], v[176:177]
	v_add_f64 v[12:13], v[70:71], v[12:13]
	v_fma_f64 v[68:69], v[76:77], s[4:5], v[211:212]
	v_fma_f64 v[70:71], v[72:73], s[4:5], v[219:220]
	;; [unrolled: 1-line block ×12, first 2 shown]
	v_add3_u32 v87, 0, v87, v95
	v_fma_f64 v[95:96], v[144:145], s[4:5], v[206:207]
	v_fma_f64 v[97:98], v[230:231], s[4:5], v[129:130]
	v_add_f64 v[14:15], v[78:79], v[14:15]
	v_fma_f64 v[76:77], v[100:101], s[4:5], v[162:163]
	v_fma_f64 v[78:79], v[102:103], s[4:5], v[140:141]
	;; [unrolled: 1-line block ×8, first 2 shown]
	v_and_b32_e32 v82, 0xffff, v122
	v_fma_f64 v[129:130], v[180:181], s[4:5], v[191:192]
	v_fma_f64 v[131:132], v[150:151], s[4:5], v[142:143]
	;; [unrolled: 1-line block ×7, first 2 shown]
	v_mul_u32_u24_e32 v122, 0x147b, v82
	v_fma_f64 v[145:146], v[226:227], s[4:5], v[217:218]
	v_lshlrev_b32_e32 v88, 1, v248
	v_and_b32_e32 v91, 0xffff, v123
	v_lshlrev_b32_e32 v247, 4, v137
	v_fma_f64 v[137:138], v[164:165], s[4:5], v[202:203]
	v_fma_f64 v[139:140], v[156:157], s[4:5], v[152:153]
	v_mul_lo_u16 v121, v83, 50
	v_fma_f64 v[143:144], v[228:229], s[4:5], v[223:224]
	v_fma_f64 v[147:148], v[228:229], s[4:5], v[188:189]
	v_mul_u32_u24_e32 v123, 0x147b, v91
	v_mul_u32_u24_e32 v235, 0x147b, v124
	v_lshrrev_b32_e32 v94, 17, v122
	v_sub_nc_u16 v121, v248, v121
	s_clause 0x5
	scratch_store_b32 off, v251, off offset:40
	scratch_store_b32 off, v84, off offset:56
	;; [unrolled: 1-line block ×6, first 2 shown]
	v_add3_u32 v80, 0, v225, v243
	v_add3_u32 v81, 0, v237, v244
	;; [unrolled: 1-line block ×5, first 2 shown]
	s_waitcnt_vscnt null, 0x0
	s_barrier
	buffer_gl0_inv
	ds_store_b128 v87, v[8:11]
	ds_store_b128 v87, v[32:35] offset:160
	ds_store_b128 v87, v[24:27] offset:320
	ds_store_b128 v87, v[28:31] offset:480
	ds_store_b128 v87, v[36:39] offset:640
	ds_store_b128 v80, v[4:7]
	ds_store_b128 v80, v[48:51] offset:160
	ds_store_b128 v80, v[40:43] offset:320
	ds_store_b128 v80, v[44:47] offset:480
	ds_store_b128 v80, v[52:55] offset:640
	;; [unrolled: 5-line block ×6, first 2 shown]
	v_mul_u32_u24_e32 v1, 0x147b, v85
	v_mul_lo_u16 v2, v94, 50
	v_lshrrev_b32_e32 v97, 17, v123
	v_lshrrev_b32_e32 v101, 17, v235
	v_and_b32_e32 v92, 0xff, v121
	v_mul_lo_u16 v121, v93, 50
	v_lshrrev_b32_e32 v98, 17, v210
	v_sub_nc_u16 v2, v249, v2
	v_mul_lo_u16 v4, v97, 50
	v_lshrrev_b32_e32 v108, 17, v1
	v_mul_lo_u16 v1, v101, 50
	v_sub_nc_u16 v121, v84, v121
	v_and_b32_e32 v96, 0xffff, v2
	v_mul_lo_u16 v2, v98, 50
	v_sub_nc_u16 v4, v127, v4
	v_sub_nc_u16 v1, v251, v1
	v_lshlrev_b32_e32 v122, 5, v92
	v_and_b32_e32 v95, 0xffff, v121
	v_sub_nc_u16 v2, v128, v2
	v_and_b32_e32 v100, 0xffff, v4
	v_and_b32_e32 v107, 0xffff, v1
	v_mul_u32_u24_e32 v234, 0x147b, v117
	s_waitcnt lgkmcnt(0)
	s_barrier
	buffer_gl0_inv
	global_load_b128 v[12:15], v122, s[8:9] offset:640
	v_lshlrev_b32_e32 v3, 5, v95
	v_and_b32_e32 v103, 0xffff, v2
	v_lshlrev_b32_e32 v2, 5, v100
	v_lshlrev_b32_e32 v6, 5, v107
	global_load_b128 v[40:43], v122, s[8:9] offset:656
	v_mul_u32_u24_e32 v0, 0x147b, v255
	v_lshrrev_b32_e32 v99, 17, v234
	s_clause 0x3
	global_load_b128 v[48:51], v3, s[8:9] offset:640
	global_load_b128 v[60:63], v2, s[8:9] offset:656
	;; [unrolled: 1-line block ×4, first 2 shown]
	v_lshlrev_b32_e32 v3, 5, v96
	v_lshrrev_b32_e32 v105, 17, v0
	v_mul_lo_u16 v0, v99, 50
	v_mul_u32_u24_e32 v236, 0x147b, v125
	s_clause 0x2
	global_load_b128 v[68:71], v2, s[8:9] offset:640
	global_load_b128 v[64:67], v3, s[8:9] offset:640
	;; [unrolled: 1-line block ×3, first 2 shown]
	v_sub_nc_u16 v0, v116, v0
	v_lshrrev_b32_e32 v102, 17, v236
	v_mul_lo_u16 v4, v108, 50
	global_load_b128 v[16:19], v6, s[8:9] offset:656
	s_clause 0x1
	scratch_store_b32 off, v90, off offset:44
	scratch_store_b32 off, v116, off offset:52
	v_and_b32_e32 v106, 0xffff, v0
	v_mul_lo_u16 v3, v102, 50
	v_lshlrev_b32_e32 v0, 5, v103
	v_sub_nc_u16 v4, v252, v4
	v_add_nc_u32_e32 v80, -15, v248
	v_lshlrev_b32_e32 v1, 5, v106
	v_sub_nc_u16 v3, v250, v3
	s_clause 0x1
	global_load_b128 v[56:59], v0, s[8:9] offset:640
	global_load_b128 v[44:47], v0, s[8:9] offset:656
	v_and_b32_e32 v111, 0xffff, v4
	global_load_b128 v[32:35], v1, s[8:9] offset:640
	v_mul_lo_u16 v2, v105, 50
	v_and_b32_e32 v109, 0xffff, v3
	v_cmp_gt_u32_e64 s0, 15, v248
	v_lshlrev_b32_e32 v76, 5, v111
	v_lshlrev_b64 v[112:113], 4, v[88:89]
	v_sub_nc_u16 v5, v253, v2
	global_load_b128 v[0:3], v1, s[8:9] offset:656
	v_cndmask_b32_e64 v127, v80, v84, s0
	v_mov_b32_e32 v115, v89
	v_mul_u32_u24_e32 v81, 0xda75, v82
	v_and_b32_e32 v110, 0xffff, v5
	v_lshlrev_b32_e32 v5, 5, v109
	v_lshlrev_b32_e32 v114, 1, v127
	v_add_co_u32 v209, s0, s8, v112
	s_delay_alu instid0(VALU_DEP_4)
	v_lshlrev_b32_e32 v4, 5, v110
	s_clause 0x5
	global_load_b128 v[28:31], v5, s[8:9] offset:640
	global_load_b128 v[24:27], v5, s[8:9] offset:656
	;; [unrolled: 1-line block ×6, first 2 shown]
	v_and_b32_e32 v80, 0xffff, v83
	v_add_co_ci_u32_e64 v210, s0, s9, v113, s0
	v_lshlrev_b64 v[189:190], 4, v[114:115]
	ds_load_b128 v[112:115], v238 offset:21600
	v_mul_u32_u24_e32 v120, 0xda75, v91
	v_lshrrev_b32_e32 v104, 22, v81
	v_mul_u32_u24_e32 v81, 0x960, v93
	v_mul_u32_u24_e32 v121, 0x960, v94
	;; [unrolled: 1-line block ×3, first 2 shown]
	v_lshlrev_b32_e32 v97, 4, v92
	ds_load_b128 v[91:94], v238 offset:43200
	v_mul_u32_u24_e32 v80, 0x960, v80
	ds_load_b128 v[129:132], v238 offset:23760
	v_mul_u32_u24_e32 v123, 0x960, v98
	v_mul_u32_u24_e32 v251, 0x960, v105
	;; [unrolled: 1-line block ×3, first 2 shown]
	v_add3_u32 v80, 0, v80, v97
	v_lshlrev_b32_e32 v105, 4, v95
	v_lshlrev_b32_e32 v108, 4, v96
	ds_load_b128 v[95:98], v238 offset:45360
	v_mul_u32_u24_e32 v82, 0x960, v99
	v_mul_u32_u24_e32 v83, 0x960, v101
	;; [unrolled: 1-line block ×3, first 2 shown]
	v_lshlrev_b32_e32 v133, 4, v100
	ds_load_b128 v[99:102], v238 offset:25920
	v_lshlrev_b32_e32 v254, 4, v106
	v_lshlrev_b32_e32 v87, 4, v107
	v_add3_u32 v81, 0, v81, v105
	v_add3_u32 v121, 0, v121, v108
	ds_load_b128 v[105:108], v238 offset:47520
	v_lshlrev_b32_e32 v86, 4, v109
	v_lshlrev_b32_e32 v84, 4, v110
	v_add3_u32 v122, 0, v122, v133
	ds_load_b128 v[133:136], v238 offset:28080
	ds_load_b128 v[137:140], v238 offset:49680
	;; [unrolled: 1-line block ×14, first 2 shown]
	v_dual_mov_b32 v128, v248 :: v_dual_lshlrev_b32 v85, 4, v111
	s_mov_b32 s4, 0xe8584caa
	s_mov_b32 s5, 0xbfebb67a
	;; [unrolled: 1-line block ×4, first 2 shown]
	v_lshlrev_b32_e32 v103, 4, v103
	v_mul_lo_u16 v253, 0x96, v104
	s_delay_alu instid0(VALU_DEP_2)
	v_add3_u32 v103, 0, v123, v103
	s_waitcnt vmcnt(19) lgkmcnt(19)
	v_mul_f64 v[191:192], v[114:115], v[14:15]
	v_mul_f64 v[14:15], v[112:113], v[14:15]
	s_waitcnt vmcnt(18) lgkmcnt(18)
	v_mul_f64 v[109:110], v[93:94], v[42:43]
	v_mul_f64 v[42:43], v[91:92], v[42:43]
	;; [unrolled: 3-line block ×4, first 2 shown]
	s_waitcnt lgkmcnt(12)
	v_mul_f64 v[203:204], v[139:140], v[62:63]
	v_mul_f64 v[62:63], v[137:138], v[62:63]
	s_waitcnt vmcnt(13)
	v_mul_f64 v[201:202], v[135:136], v[70:71]
	s_waitcnt vmcnt(12)
	;; [unrolled: 2-line block ×3, first 2 shown]
	v_mul_f64 v[199:200], v[107:108], v[74:75]
	v_mul_f64 v[74:75], v[105:106], v[74:75]
	;; [unrolled: 1-line block ×4, first 2 shown]
	s_waitcnt vmcnt(10) lgkmcnt(5)
	v_mul_f64 v[211:212], v[167:168], v[18:19]
	v_mul_f64 v[18:19], v[165:166], v[18:19]
	s_waitcnt vmcnt(8)
	v_mul_f64 v[205:206], v[149:150], v[46:47]
	v_fma_f64 v[111:112], v[112:113], v[12:13], v[191:192]
	v_fma_f64 v[14:15], v[114:115], v[12:13], -v[14:15]
	v_mul_f64 v[113:114], v[143:144], v[58:59]
	v_mul_f64 v[58:59], v[141:142], v[58:59]
	;; [unrolled: 1-line block ×3, first 2 shown]
	v_fma_f64 v[91:92], v[91:92], v[40:41], v[109:110]
	s_waitcnt vmcnt(7)
	v_mul_f64 v[109:110], v[147:148], v[34:35]
	v_mul_f64 v[34:35], v[145:146], v[34:35]
	s_waitcnt vmcnt(6)
	v_mul_f64 v[207:208], v[155:156], v[2:3]
	v_mul_f64 v[2:3], v[153:154], v[2:3]
	v_fma_f64 v[129:130], v[129:130], v[48:49], v[193:194]
	v_mul_f64 v[193:194], v[159:160], v[22:23]
	v_mul_f64 v[22:23], v[157:158], v[22:23]
	v_fma_f64 v[95:96], v[95:96], v[52:53], v[195:196]
	s_waitcnt vmcnt(5)
	v_mul_f64 v[195:196], v[163:164], v[30:31]
	v_mul_f64 v[213:214], v[161:162], v[30:31]
	s_waitcnt vmcnt(4) lgkmcnt(4)
	v_mul_f64 v[215:216], v[171:172], v[26:27]
	v_mul_f64 v[26:27], v[169:170], v[26:27]
	v_fma_f64 v[99:100], v[99:100], v[64:65], v[197:198]
	s_waitcnt vmcnt(3) lgkmcnt(3)
	v_mul_f64 v[197:198], v[175:176], v[10:11]
	v_mul_f64 v[217:218], v[173:174], v[10:11]
	s_waitcnt vmcnt(2) lgkmcnt(1)
	v_mul_f64 v[219:220], v[183:184], v[6:7]
	v_mul_f64 v[6:7], v[181:182], v[6:7]
	v_fma_f64 v[105:106], v[105:106], v[72:73], v[199:200]
	v_fma_f64 v[72:73], v[107:108], v[72:73], -v[74:75]
	s_waitcnt vmcnt(1)
	v_mul_f64 v[74:75], v[179:180], v[38:39]
	v_mul_f64 v[107:108], v[177:178], v[38:39]
	s_waitcnt vmcnt(0) lgkmcnt(0)
	v_mul_f64 v[199:200], v[187:188], v[78:79]
	v_mul_f64 v[78:79], v[185:186], v[78:79]
	v_fma_f64 v[93:94], v[93:94], v[40:41], -v[42:43]
	v_fma_f64 v[131:132], v[131:132], v[48:49], -v[50:51]
	;; [unrolled: 1-line block ×4, first 2 shown]
	v_fma_f64 v[133:134], v[133:134], v[68:69], v[201:202]
	v_fma_f64 v[70:71], v[135:136], v[68:69], -v[70:71]
	v_fma_f64 v[135:136], v[137:138], v[60:61], v[203:204]
	v_fma_f64 v[137:138], v[139:140], v[60:61], -v[62:63]
	ds_load_b128 v[10:13], v238
	ds_load_b128 v[38:41], v238 offset:2160
	ds_load_b128 v[46:49], v238 offset:4320
	;; [unrolled: 1-line block ×3, first 2 shown]
	v_fma_f64 v[113:114], v[141:142], v[56:57], v[113:114]
	v_fma_f64 v[139:140], v[143:144], v[56:57], -v[58:59]
	v_fma_f64 v[141:142], v[149:150], v[44:45], v[191:192]
	v_fma_f64 v[143:144], v[151:152], v[44:45], -v[205:206]
	v_fma_f64 v[109:110], v[145:146], v[32:33], v[109:110]
	v_fma_f64 v[34:35], v[147:148], v[32:33], -v[34:35]
	v_fma_f64 v[145:146], v[153:154], v[0:1], v[207:208]
	v_fma_f64 v[147:148], v[155:156], v[0:1], -v[2:3]
	v_fma_f64 v[149:150], v[165:166], v[16:17], v[211:212]
	v_fma_f64 v[0:1], v[157:158], v[20:21], v[193:194]
	v_fma_f64 v[2:3], v[159:160], v[20:21], -v[22:23]
	v_fma_f64 v[151:152], v[167:168], v[16:17], -v[18:19]
	v_fma_f64 v[16:17], v[161:162], v[28:29], v[195:196]
	v_fma_f64 v[18:19], v[163:164], v[28:29], -v[213:214]
	v_fma_f64 v[28:29], v[169:170], v[24:25], v[215:216]
	v_fma_f64 v[153:154], v[171:172], v[24:25], -v[26:27]
	ds_load_b128 v[54:57], v238 offset:8640
	ds_load_b128 v[58:61], v238 offset:10800
	v_fma_f64 v[20:21], v[173:174], v[8:9], v[197:198]
	v_fma_f64 v[8:9], v[175:176], v[8:9], -v[217:218]
	v_fma_f64 v[155:156], v[181:182], v[4:5], v[219:220]
	v_fma_f64 v[157:158], v[183:184], v[4:5], -v[6:7]
	v_add_f64 v[22:23], v[111:112], v[91:92]
	ds_load_b128 v[42:45], v238 offset:12960
	ds_load_b128 v[62:65], v238 offset:15120
	v_fma_f64 v[4:5], v[177:178], v[36:37], v[74:75]
	v_fma_f64 v[6:7], v[179:180], v[36:37], -v[107:108]
	v_fma_f64 v[74:75], v[185:186], v[76:77], v[199:200]
	v_fma_f64 v[76:77], v[187:188], v[76:77], -v[78:79]
	v_add_f64 v[24:25], v[14:15], v[93:94]
	s_waitcnt lgkmcnt(7)
	v_add_f64 v[26:27], v[12:13], v[14:15]
	v_add_f64 v[36:37], v[10:11], v[111:112]
	v_add_f64 v[78:79], v[14:15], -v[93:94]
	v_add_f64 v[107:108], v[111:112], -v[91:92]
	v_add_f64 v[14:15], v[129:130], v[95:96]
	v_add_f64 v[111:112], v[131:132], v[97:98]
	s_waitcnt lgkmcnt(6)
	v_add_f64 v[159:160], v[40:41], v[131:132]
	v_add_f64 v[161:162], v[38:39], v[129:130]
	;; [unrolled: 1-line block ×4, first 2 shown]
	ds_load_b128 v[30:33], v238 offset:17280
	ds_load_b128 v[66:69], v238 offset:19440
	s_waitcnt lgkmcnt(7)
	v_add_f64 v[167:168], v[48:49], v[101:102]
	v_add_f64 v[169:170], v[46:47], v[99:100]
	v_add_f64 v[171:172], v[133:134], v[135:136]
	v_add_f64 v[173:174], v[70:71], v[137:138]
	s_waitcnt lgkmcnt(6)
	v_add_f64 v[175:176], v[52:53], v[70:71]
	v_add_f64 v[177:178], v[50:51], v[133:134]
	v_add_f64 v[179:180], v[113:114], v[141:142]
	v_add_f64 v[181:182], v[139:140], v[143:144]
	;; [unrolled: 5-line block ×3, first 2 shown]
	s_waitcnt lgkmcnt(4)
	v_add_f64 v[193:194], v[60:61], v[34:35]
	v_add_f64 v[195:196], v[58:59], v[109:110]
	v_add_f64 v[197:198], v[34:35], -v[147:148]
	v_add_f64 v[34:35], v[0:1], v[149:150]
	v_add_f64 v[199:200], v[2:3], v[151:152]
	s_waitcnt lgkmcnt(3)
	v_add_f64 v[201:202], v[44:45], v[2:3]
	v_add_f64 v[203:204], v[42:43], v[0:1]
	v_add_f64 v[211:212], v[16:17], v[28:29]
	v_add_f64 v[213:214], v[18:19], v[153:154]
	s_waitcnt lgkmcnt(2)
	v_add_f64 v[215:216], v[64:65], v[18:19]
	v_add_f64 v[219:220], v[20:21], v[155:156]
	;; [unrolled: 5-line block ×3, first 2 shown]
	v_add_f64 v[231:232], v[4:5], v[74:75]
	v_add_f64 v[233:234], v[6:7], v[76:77]
	v_fma_f64 v[227:228], v[22:23], -0.5, v[10:11]
	v_fma_f64 v[229:230], v[24:25], -0.5, v[12:13]
	v_add_f64 v[131:132], v[131:132], -v[97:98]
	v_add_f64 v[129:130], v[129:130], -v[95:96]
	v_fma_f64 v[249:250], v[14:15], -0.5, v[38:39]
	v_fma_f64 v[111:112], v[111:112], -0.5, v[40:41]
	v_add_f64 v[101:102], v[101:102], -v[72:73]
	v_add_f64 v[99:100], v[99:100], -v[105:106]
	;; [unrolled: 1-line block ×4, first 2 shown]
	v_add_f64 v[2:3], v[26:27], v[93:94]
	v_add_f64 v[0:1], v[36:37], v[91:92]
	s_waitcnt lgkmcnt(0)
	v_add_f64 v[91:92], v[68:69], v[6:7]
	v_add_f64 v[93:94], v[66:67], v[4:5]
	v_add_f64 v[245:246], v[6:7], -v[76:77]
	v_add_f64 v[247:248], v[4:5], -v[74:75]
	v_add_f64 v[6:7], v[159:160], v[97:98]
	v_add_f64 v[4:5], v[161:162], v[95:96]
	v_fma_f64 v[95:96], v[163:164], -0.5, v[46:47]
	v_fma_f64 v[97:98], v[165:166], -0.5, v[48:49]
	v_add_f64 v[70:71], v[70:71], -v[137:138]
	v_add_f64 v[133:134], v[133:134], -v[135:136]
	;; [unrolled: 1-line block ×3, first 2 shown]
	v_add_f64 v[10:11], v[167:168], v[72:73]
	v_add_f64 v[8:9], v[169:170], v[105:106]
	v_fma_f64 v[72:73], v[171:172], -0.5, v[50:51]
	v_fma_f64 v[105:106], v[173:174], -0.5, v[52:53]
	v_add_f64 v[139:140], v[139:140], -v[143:144]
	v_add_f64 v[113:114], v[113:114], -v[141:142]
	v_add_f64 v[14:15], v[175:176], v[137:138]
	v_add_f64 v[12:13], v[177:178], v[135:136]
	v_fma_f64 v[135:136], v[179:180], -0.5, v[54:55]
	v_fma_f64 v[137:138], v[181:182], -0.5, v[56:57]
	v_add_f64 v[109:110], v[109:110], -v[145:146]
	v_add_f64 v[235:236], v[18:19], -v[153:154]
	;; [unrolled: 1-line block ×3, first 2 shown]
	v_add_f64 v[18:19], v[183:184], v[143:144]
	v_add_f64 v[16:17], v[185:186], v[141:142]
	v_fma_f64 v[141:142], v[187:188], -0.5, v[58:59]
	v_fma_f64 v[143:144], v[191:192], -0.5, v[60:61]
	v_add_f64 v[243:244], v[20:21], -v[155:156]
	v_add_f64 v[22:23], v[193:194], v[147:148]
	v_add_f64 v[20:21], v[195:196], v[145:146]
	v_fma_f64 v[145:146], v[34:35], -0.5, v[42:43]
	v_fma_f64 v[147:148], v[199:200], -0.5, v[44:45]
	v_add_f64 v[26:27], v[201:202], v[151:152]
	v_add_f64 v[24:25], v[203:204], v[149:150]
	v_fma_f64 v[149:150], v[211:212], -0.5, v[62:63]
	v_fma_f64 v[151:152], v[213:214], -0.5, v[64:65]
	v_add_f64 v[36:37], v[215:216], v[153:154]
	v_fma_f64 v[153:154], v[219:220], -0.5, v[30:31]
	v_fma_f64 v[32:33], v[221:222], -0.5, v[32:33]
	v_add_f64 v[34:35], v[217:218], v[28:29]
	v_add_f64 v[30:31], v[223:224], v[157:158]
	;; [unrolled: 1-line block ×3, first 2 shown]
	v_fma_f64 v[155:156], v[231:232], -0.5, v[66:67]
	v_fma_f64 v[157:158], v[233:234], -0.5, v[68:69]
	v_fma_f64 v[42:43], v[78:79], s[4:5], v[227:228]
	v_fma_f64 v[44:45], v[107:108], s[10:11], v[229:230]
	;; [unrolled: 1-line block ×16, first 2 shown]
	v_add_f64 v[40:41], v[91:92], v[76:77]
	v_add_f64 v[38:39], v[93:94], v[74:75]
	v_fma_f64 v[74:75], v[139:140], s[4:5], v[135:136]
	v_fma_f64 v[76:77], v[113:114], s[10:11], v[137:138]
	;; [unrolled: 1-line block ×24, first 2 shown]
	v_add3_u32 v32, 0, v82, v254
	v_add3_u32 v33, 0, v83, v87
	;; [unrolled: 1-line block ×5, first 2 shown]
	s_waitcnt_vscnt null, 0x0
	s_barrier
	buffer_gl0_inv
	ds_store_b128 v80, v[0:3]
	ds_store_b128 v80, v[42:45] offset:800
	ds_store_b128 v80, v[46:49] offset:1600
	ds_store_b128 v81, v[4:7]
	ds_store_b128 v81, v[50:53] offset:800
	ds_store_b128 v81, v[54:57] offset:1600
	;; [unrolled: 3-line block ×10, first 2 shown]
	s_waitcnt lgkmcnt(0)
	s_barrier
	buffer_gl0_inv
	global_load_b128 v[0:3], v[209:210], off offset:2240
	scratch_load_b32 v82, off, off offset:68 ; 4-byte Folded Reload
	v_add_co_u32 v12, s0, s8, v189
	s_delay_alu instid0(VALU_DEP_1)
	v_add_co_ci_u32_e64 v13, s0, s9, v190, s0
	v_mul_u32_u24_e32 v17, 0xda75, v126
	global_load_b128 v[4:7], v[209:210], off offset:2256
	v_mov_b32_e32 v135, v128
	v_lshrrev_b32_e32 v105, 22, v120
	v_mul_u32_u24_e32 v26, 0xda75, v124
	v_lshrrev_b32_e32 v108, 22, v17
	v_lshlrev_b32_e32 v99, 4, v127
	v_cmp_lt_u32_e64 s0, 14, v135
	v_mul_lo_u16 v16, 0x96, v105
	v_subrev_nc_u32_e32 v80, 45, v135
	v_mul_lo_u16 v24, 0x96, v108
	v_lshrrev_b32_e32 v110, 22, v26
	v_cndmask_b32_e64 v81, 0, 0x1c20, s0
	v_cmp_gt_u32_e64 s0, 45, v135
	v_mul_u32_u24_e32 v128, 0x1c20, v108
	v_sub_nc_u16 v24, v90, v24
	v_dual_mov_b32 v91, v89 :: v_dual_mov_b32 v90, v88
	v_mul_lo_u16 v39, 0x96, v110
	v_mul_u32_u24_e32 v237, 0x1c20, v110
	s_delay_alu instid0(VALU_DEP_3) | instskip(NEXT) | instid1(VALU_DEP_4)
	v_dual_mov_b32 v93, v91 :: v_dual_and_b32 v114, 0xffff, v24
	v_mov_b32_e32 v92, v90
	v_mul_u32_u24_e32 v37, 0xda75, v125
	s_delay_alu instid0(VALU_DEP_3) | instskip(NEXT) | instid1(VALU_DEP_3)
	v_dual_mov_b32 v85, v91 :: v_dual_lshlrev_b32 v36, 5, v114
	v_dual_mov_b32 v89, v91 :: v_dual_add_nc_u32 v90, 0xb4, v92
	s_delay_alu instid0(VALU_DEP_3)
	v_lshrrev_b32_e32 v111, 22, v37
	v_add_nc_u32_e32 v92, 0x1c2, v92
	v_mov_b32_e32 v95, v93
	v_mul_u32_u24_e32 v225, 0x1c20, v104
	v_mul_u32_u24_e32 v226, 0x1c20, v105
	v_mul_lo_u16 v41, 0x96, v111
	v_mov_b32_e32 v94, v92
	v_mul_u32_u24_e32 v38, 0xda75, v255
	v_mul_u32_u24_e32 v126, 0x1c20, v111
	v_lshlrev_b32_e32 v114, 4, v114
	s_delay_alu instid0(VALU_DEP_3) | instskip(NEXT) | instid1(VALU_DEP_1)
	v_lshrrev_b32_e32 v83, 22, v38
	v_mul_lo_u16 v43, 0x96, v83
	s_waitcnt vmcnt(1)
	v_sub_nc_u16 v8, v82, v253
	v_lshlrev_b32_e32 v88, 1, v82
	v_add3_u32 v82, 0, v81, v99
	s_delay_alu instid0(VALU_DEP_3)
	v_and_b32_e32 v106, 0xffff, v8
	s_clause 0x1
	global_load_b128 v[8:11], v[12:13], off offset:2240
	global_load_b128 v[12:15], v[12:13], off offset:2256
	s_clause 0x2
	scratch_load_b32 v86, off, off offset:16
	scratch_load_b32 v37, off, off offset:60
	;; [unrolled: 1-line block ×3, first 2 shown]
	v_lshlrev_b32_e32 v20, 5, v106
	v_lshlrev_b64 v[87:88], 4, v[88:89]
	global_load_b128 v[44:47], v36, s[8:9] offset:2256
	s_waitcnt vmcnt(3)
	v_sub_nc_u16 v21, v86, v16
	v_cndmask_b32_e64 v136, v80, v86, s0
	v_mov_b32_e32 v86, v91
	v_mul_u32_u24_e32 v22, 0xda75, v117
	s_waitcnt vmcnt(2)
	v_mul_u32_u24_e32 v37, 0xda75, v37
	v_and_b32_e32 v107, 0xffff, v21
	s_waitcnt vmcnt(1)
	v_sub_nc_u16 v38, v145, v39
	global_load_b128 v[16:19], v20, s[8:9] offset:2240
	v_lshrrev_b32_e32 v109, 22, v22
	v_lshrrev_b32_e32 v42, 22, v37
	v_lshlrev_b32_e32 v25, 5, v107
	v_dual_mov_b32 v91, v93 :: v_dual_and_b32 v134, 0xffff, v38
	s_delay_alu instid0(VALU_DEP_4) | instskip(NEXT) | instid1(VALU_DEP_4)
	v_mul_lo_u16 v27, 0x96, v109
	v_mul_lo_u16 v42, 0x96, v42
	s_clause 0x1
	global_load_b128 v[28:31], v25, s[8:9] offset:2240
	global_load_b128 v[20:23], v20, s[8:9] offset:2256
	v_lshlrev_b32_e32 v48, 5, v134
	v_sub_nc_u16 v32, v116, v27
	global_load_b128 v[24:27], v25, s[8:9] offset:2256
	v_and_b32_e32 v80, 0xffff, v145
	v_lshlrev_b64 v[89:90], 4, v[90:91]
	v_mul_u32_u24_e32 v132, 0x1c20, v109
	v_and_b32_e32 v133, 0xffff, v32
	global_load_b128 v[32:35], v36, s[8:9] offset:2240
	v_mul_u32_u24_e32 v91, 0x91a3, v80
	v_lshlrev_b32_e32 v40, 5, v133
	global_load_b128 v[36:39], v40, s[8:9] offset:2240
	s_clause 0x1
	scratch_load_b32 v124, off, off offset:32
	scratch_load_b32 v149, off, off offset:24
	s_clause 0x1
	global_load_b128 v[72:75], v40, s[8:9] offset:2256
	global_load_b128 v[52:55], v48, s[8:9] offset:2240
	scratch_load_b32 v125, off, off offset:8 ; 4-byte Folded Reload
	v_lshrrev_b32_e32 v255, 24, v91
	s_delay_alu instid0(VALU_DEP_1) | instskip(NEXT) | instid1(VALU_DEP_1)
	v_mul_lo_u16 v117, 0x1c2, v255
	v_sub_nc_u16 v108, v145, v117
	s_delay_alu instid0(VALU_DEP_1)
	v_and_b32_e32 v80, 0xffff, v108
	v_lshlrev_b32_e32 v108, 4, v106
	s_waitcnt vmcnt(4)
	v_sub_nc_u16 v41, v124, v41
	s_waitcnt vmcnt(3)
	v_and_b32_e32 v97, 0xffff, v149
	v_and_b32_e32 v96, 0xffff, v124
	s_waitcnt vmcnt(0)
	v_and_b32_e32 v98, 0xffff, v125
	v_and_b32_e32 v131, 0xffff, v41
	v_sub_nc_u16 v41, v149, v43
	v_mul_u32_u24_e32 v97, 0x91a3, v97
	s_delay_alu instid0(VALU_DEP_4)
	v_mul_u32_u24_e32 v98, 0x91a3, v98
	v_mul_u32_u24_e32 v96, 0x91a3, v96
	v_lshlrev_b32_e32 v40, 5, v131
	v_and_b32_e32 v112, 0xffff, v41
	v_sub_nc_u16 v41, v125, v42
	s_clause 0x1
	global_load_b128 v[68:71], v48, s[8:9] offset:2256
	global_load_b128 v[48:51], v40, s[8:9] offset:2240
	v_lshrrev_b32_e32 v91, 24, v98
	v_lshlrev_b32_e32 v42, 5, v112
	v_and_b32_e32 v113, 0xffff, v41
	s_clause 0x1
	global_load_b128 v[64:67], v40, s[8:9] offset:2256
	global_load_b128 v[56:59], v42, s[8:9] offset:2240
	v_add_co_u32 v98, s0, 0x1000, v209
	v_lshlrev_b32_e32 v76, 5, v113
	s_clause 0x2
	global_load_b128 v[40:43], v42, s[8:9] offset:2256
	global_load_b128 v[60:63], v76, s[8:9] offset:2240
	;; [unrolled: 1-line block ×3, first 2 shown]
	scratch_load_b32 v84, off, off offset:56 ; 4-byte Folded Reload
	v_add_co_ci_u32_e64 v99, s0, 0, v210, s0
	ds_load_b128 v[137:140], v238 offset:21600
	ds_load_b128 v[145:148], v238 offset:23760
	;; [unrolled: 1-line block ×5, first 2 shown]
	v_lshrrev_b32_e32 v81, 24, v96
	s_clause 0x1
	scratch_store_b64 off, v[94:95], off offset:60
	scratch_store_b32 off, v80, off offset:56
	v_lshlrev_b64 v[94:95], 4, v[94:95]
	ds_load_b128 v[157:160], v238 offset:47520
	ds_load_b128 v[165:168], v238 offset:49680
	;; [unrolled: 1-line block ×3, first 2 shown]
	v_mul_lo_u16 v81, 0x1c2, v81
	v_mul_lo_u16 v121, 0x1c2, v91
	v_lshlrev_b32_e32 v131, 4, v131
	s_delay_alu instid0(VALU_DEP_3) | instskip(NEXT) | instid1(VALU_DEP_3)
	v_sub_nc_u16 v109, v124, v81
	v_sub_nc_u16 v111, v125, v121
	v_lshlrev_b32_e32 v121, 4, v133
	s_waitcnt lgkmcnt(7)
	v_mul_f64 v[193:194], v[139:140], v[2:3]
	v_mul_f64 v[2:3], v[137:138], v[2:3]
	s_waitcnt lgkmcnt(6)
	v_mul_f64 v[199:200], v[147:148], v[10:11]
	v_mul_f64 v[10:11], v[145:146], v[10:11]
	s_waitcnt lgkmcnt(4)
	v_mul_f64 v[203:204], v[155:156], v[18:19]
	v_mul_f64 v[18:19], v[153:154], v[18:19]
	v_and_b32_e32 v117, 0xffff, v109
	v_lshlrev_b32_e32 v109, 4, v107
	v_lshlrev_b32_e32 v124, 4, v112
	s_waitcnt lgkmcnt(2)
	v_mul_f64 v[106:107], v[159:160], v[22:23]
	v_mul_f64 v[22:23], v[157:158], v[22:23]
	s_waitcnt lgkmcnt(1)
	v_mul_f64 v[205:206], v[167:168], v[26:27]
	s_waitcnt lgkmcnt(0)
	v_mul_f64 v[211:212], v[171:172], v[34:35]
	v_mul_f64 v[26:27], v[165:166], v[26:27]
	;; [unrolled: 1-line block ×3, first 2 shown]
	v_lshl_add_u32 v125, v113, 4, 0
	v_add3_u32 v81, 0, v226, v109
	v_and_b32_e32 v111, 0xffff, v111
	v_fma_f64 v[193:194], v[137:138], v[0:1], v[193:194]
	v_fma_f64 v[207:208], v[139:140], v[0:1], -v[2:3]
	v_fma_f64 v[145:146], v[145:146], v[8:9], v[199:200]
	v_fma_f64 v[147:148], v[147:148], v[8:9], -v[10:11]
	;; [unrolled: 2-line block ×4, first 2 shown]
	v_fma_f64 v[165:166], v[165:166], v[24:25], v[205:206]
	v_fma_f64 v[169:170], v[169:170], v[32:33], v[211:212]
	v_fma_f64 v[167:168], v[167:168], v[24:25], -v[26:27]
	v_fma_f64 v[171:172], v[171:172], v[32:33], -v[34:35]
	s_waitcnt vmcnt(0)
	v_lshlrev_b32_e32 v84, 1, v84
	s_delay_alu instid0(VALU_DEP_1) | instskip(SKIP_1) | instid1(VALU_DEP_1)
	v_lshlrev_b64 v[92:93], 4, v[84:85]
	v_lshlrev_b32_e32 v85, 1, v136
	v_lshlrev_b64 v[84:85], 4, v[85:86]
	v_lshrrev_b32_e32 v86, 24, v97
	s_delay_alu instid0(VALU_DEP_4) | instskip(NEXT) | instid1(VALU_DEP_1)
	v_add_co_u32 v115, s0, s8, v92
	v_add_co_ci_u32_e64 v127, s0, s9, v93, s0
	s_delay_alu instid0(VALU_DEP_3) | instskip(SKIP_1) | instid1(VALU_DEP_1)
	v_mul_lo_u16 v120, 0x1c2, v86
	v_add_co_u32 v96, s0, 0x1b80, v209
	v_add_co_ci_u32_e64 v97, s0, 0, v210, s0
	s_delay_alu instid0(VALU_DEP_3) | instskip(SKIP_2) | instid1(VALU_DEP_1)
	v_sub_nc_u16 v110, v149, v120
	ds_load_b128 v[149:152], v238 offset:45360
	v_add_co_u32 v129, s0, s8, v87
	v_add_co_ci_u32_e64 v130, s0, s9, v88, s0
	v_add_co_u32 v87, s0, s8, v89
	s_delay_alu instid0(VALU_DEP_1) | instskip(SKIP_1) | instid1(VALU_DEP_1)
	v_add_co_ci_u32_e64 v89, s0, s9, v90, s0
	v_add_co_u32 v90, s0, s8, v94
	v_add_co_ci_u32_e64 v116, s0, s9, v95, s0
	v_add_co_u32 v100, s0, 0x1000, v115
	s_delay_alu instid0(VALU_DEP_1) | instskip(SKIP_1) | instid1(VALU_DEP_1)
	v_add_co_ci_u32_e64 v101, s0, 0, v127, s0
	v_add_co_u32 v102, s0, 0x1b80, v115
	v_add_co_ci_u32_e64 v103, s0, 0, v127, s0
	v_add_co_u32 v94, s0, 0x1000, v129
	v_mul_f64 v[197:198], v[143:144], v[6:7]
	v_mul_f64 v[6:7], v[141:142], v[6:7]
	s_waitcnt lgkmcnt(0)
	v_mul_f64 v[201:202], v[151:152], v[14:15]
	v_mul_f64 v[14:15], v[149:150], v[14:15]
	v_add_co_ci_u32_e64 v95, s0, 0, v130, s0
	v_add_co_u32 v92, s0, 0x1b80, v129
	s_delay_alu instid0(VALU_DEP_1) | instskip(SKIP_1) | instid1(VALU_DEP_1)
	v_add_co_ci_u32_e64 v93, s0, 0, v130, s0
	v_add_co_u32 v122, s0, s8, v84
	v_add_co_ci_u32_e64 v123, s0, s9, v85, s0
	v_add_co_u32 v84, s0, 0x1000, v87
	s_delay_alu instid0(VALU_DEP_1) | instskip(SKIP_1) | instid1(VALU_DEP_1)
	v_add_co_ci_u32_e64 v85, s0, 0, v89, s0
	v_add_co_u32 v88, s0, 0x1b80, v87
	;; [unrolled: 5-line block ×3, first 2 shown]
	v_add_co_ci_u32_e64 v91, s0, 0, v116, s0
	v_mul_u32_u24_e32 v116, 0x1c20, v83
	v_lshlrev_b32_e32 v83, 4, v134
	v_mul_f64 v[133:134], v[163:164], v[30:31]
	v_mul_f64 v[30:31], v[161:162], v[30:31]
	ds_load_b128 v[173:176], v238 offset:32400
	ds_load_b128 v[177:180], v238 offset:51840
	;; [unrolled: 1-line block ×7, first 2 shown]
	v_lshlrev_b32_e32 v120, 5, v80
	v_fma_f64 v[141:142], v[141:142], v[4:5], v[197:198]
	v_fma_f64 v[143:144], v[143:144], v[4:5], -v[6:7]
	ds_load_b128 v[4:7], v238 offset:38880
	ds_load_b128 v[8:11], v238 offset:41040
	v_fma_f64 v[149:150], v[149:150], v[12:13], v[201:202]
	v_fma_f64 v[151:152], v[151:152], v[12:13], -v[14:15]
	ds_load_b128 v[12:15], v238 offset:60480
	ds_load_b128 v[16:19], v238 offset:62640
	ds_load_b128 v[20:23], v238
	ds_load_b128 v[24:27], v238 offset:2160
	v_add3_u32 v80, 0, v225, v108
	v_add_co_u32 v104, s0, 0x1000, v122
	s_delay_alu instid0(VALU_DEP_1) | instskip(SKIP_1) | instid1(VALU_DEP_1)
	v_add_co_ci_u32_e64 v105, s0, 0, v123, s0
	v_add_co_u32 v195, s0, 0x1b80, v122
	v_add_co_ci_u32_e64 v196, s0, 0, v123, s0
	s_waitcnt lgkmcnt(11)
	v_mul_f64 v[197:198], v[179:180], v[46:47]
	v_mul_f64 v[46:47], v[177:178], v[46:47]
	;; [unrolled: 1-line block ×4, first 2 shown]
	s_waitcnt lgkmcnt(10)
	v_mul_f64 v[201:202], v[183:184], v[74:75]
	v_mul_f64 v[74:75], v[181:182], v[74:75]
	s_waitcnt lgkmcnt(9)
	v_mul_f64 v[203:204], v[187:188], v[54:55]
	v_mul_f64 v[54:55], v[185:186], v[54:55]
	;; [unrolled: 3-line block ×3, first 2 shown]
	v_mul_f64 v[215:216], v[191:192], v[50:51]
	s_waitcnt lgkmcnt(6)
	v_mul_f64 v[217:218], v[139:140], v[66:67]
	v_mul_f64 v[219:220], v[137:138], v[66:67]
	s_waitcnt lgkmcnt(5)
	v_mul_f64 v[221:222], v[6:7], v[58:59]
	v_mul_f64 v[58:59], v[4:5], v[58:59]
	s_waitcnt lgkmcnt(3)
	v_mul_f64 v[205:206], v[14:15], v[42:43]
	v_fma_f64 v[133:134], v[161:162], v[28:29], v[133:134]
	v_fma_f64 v[161:162], v[163:164], v[28:29], -v[30:31]
	v_mul_f64 v[163:164], v[189:190], v[50:51]
	v_mul_f64 v[112:113], v[12:13], v[42:43]
	v_mul_f64 v[223:224], v[10:11], v[62:63]
	v_mul_f64 v[62:63], v[8:9], v[62:63]
	s_waitcnt lgkmcnt(2)
	v_mul_f64 v[211:212], v[18:19], v[78:79]
	v_mul_f64 v[78:79], v[16:17], v[78:79]
	ds_load_b128 v[28:31], v238 offset:4320
	ds_load_b128 v[32:35], v238 offset:6480
	v_and_b32_e32 v110, 0xffff, v110
	v_add3_u32 v83, 0, v237, v83
	v_lshl_add_u32 v237, v111, 4, 0
	v_fma_f64 v[177:178], v[177:178], v[44:45], v[197:198]
	v_fma_f64 v[46:47], v[179:180], v[44:45], -v[46:47]
	v_fma_f64 v[173:174], v[173:174], v[36:37], v[199:200]
	v_fma_f64 v[175:176], v[175:176], v[36:37], -v[38:39]
	;; [unrolled: 2-line block ×5, first 2 shown]
	v_fma_f64 v[185:186], v[189:190], v[48:49], v[215:216]
	v_fma_f64 v[137:138], v[137:138], v[64:65], v[217:218]
	v_fma_f64 v[64:65], v[139:140], v[64:65], -v[219:220]
	v_fma_f64 v[139:140], v[4:5], v[56:57], v[221:222]
	v_fma_f64 v[56:57], v[6:7], v[56:57], -v[58:59]
	v_fma_f64 v[58:59], v[12:13], v[40:41], v[205:206]
	v_add_f64 v[4:5], v[193:194], v[141:142]
	v_add_f64 v[6:7], v[207:208], v[143:144]
	v_fma_f64 v[48:49], v[191:192], v[48:49], -v[163:164]
	v_fma_f64 v[40:41], v[14:15], v[40:41], -v[112:113]
	v_fma_f64 v[112:113], v[8:9], v[60:61], v[223:224]
	s_waitcnt lgkmcnt(3)
	v_add_f64 v[8:9], v[22:23], v[207:208]
	v_add_f64 v[12:13], v[20:21], v[193:194]
	v_fma_f64 v[60:61], v[10:11], v[60:61], -v[62:63]
	v_fma_f64 v[62:63], v[16:17], v[76:77], v[211:212]
	v_add_f64 v[10:11], v[145:146], v[149:150]
	v_fma_f64 v[76:77], v[18:19], v[76:77], -v[78:79]
	s_waitcnt lgkmcnt(2)
	v_add_f64 v[16:17], v[26:27], v[147:148]
	v_add_f64 v[18:19], v[24:25], v[145:146]
	;; [unrolled: 1-line block ×3, first 2 shown]
	v_add_f64 v[189:190], v[193:194], -v[141:142]
	s_waitcnt lgkmcnt(1)
	v_add_f64 v[191:192], v[30:31], v[155:156]
	v_add_f64 v[193:194], v[28:29], v[153:154]
	ds_load_b128 v[36:39], v238 offset:8640
	ds_load_b128 v[42:45], v238 offset:10800
	;; [unrolled: 1-line block ×4, first 2 shown]
	v_add_f64 v[78:79], v[153:154], v[106:107]
	v_add_f64 v[163:164], v[155:156], v[157:158]
	;; [unrolled: 1-line block ×6, first 2 shown]
	v_add_f64 v[187:188], v[207:208], -v[143:144]
	s_waitcnt lgkmcnt(4)
	v_add_f64 v[205:206], v[34:35], v[161:162]
	v_add_f64 v[207:208], v[32:33], v[133:134]
	;; [unrolled: 1-line block ×6, first 2 shown]
	ds_load_b128 v[0:3], v238 offset:17280
	ds_load_b128 v[66:69], v238 offset:19440
	v_add_f64 v[147:148], v[147:148], -v[151:152]
	v_add_f64 v[145:146], v[145:146], -v[149:150]
	;; [unrolled: 1-line block ×3, first 2 shown]
	s_waitcnt lgkmcnt(5)
	v_add_f64 v[213:214], v[36:37], v[169:170]
	s_waitcnt lgkmcnt(4)
	v_add_f64 v[221:222], v[42:43], v[173:174]
	v_fma_f64 v[227:228], v[4:5], -0.5, v[20:21]
	v_fma_f64 v[229:230], v[6:7], -0.5, v[22:23]
	s_waitcnt lgkmcnt(3)
	v_add_f64 v[231:232], v[52:53], v[54:55]
	v_add_f64 v[233:234], v[50:51], v[181:182]
	v_add_f64 v[153:154], v[153:154], -v[106:107]
	v_add_f64 v[6:7], v[8:9], v[143:144]
	v_add_f64 v[4:5], v[12:13], v[141:142]
	;; [unrolled: 1-line block ×4, first 2 shown]
	v_fma_f64 v[235:236], v[10:11], -0.5, v[24:25]
	v_add_f64 v[211:212], v[38:39], v[171:172]
	v_add_f64 v[10:11], v[16:17], v[151:152]
	;; [unrolled: 1-line block ×5, first 2 shown]
	v_fma_f64 v[239:240], v[14:15], -0.5, v[26:27]
	v_add_f64 v[14:15], v[191:192], v[157:158]
	v_add_f64 v[12:13], v[193:194], v[106:107]
	;; [unrolled: 1-line block ×4, first 2 shown]
	s_waitcnt lgkmcnt(1)
	v_add_f64 v[245:246], v[2:3], v[56:57]
	v_fma_f64 v[78:79], v[78:79], -0.5, v[28:29]
	v_fma_f64 v[163:164], v[163:164], -0.5, v[30:31]
	v_add_f64 v[247:248], v[0:1], v[139:140]
	v_fma_f64 v[193:194], v[199:200], -0.5, v[34:35]
	s_waitcnt lgkmcnt(0)
	v_add_f64 v[199:200], v[66:67], v[112:113]
	v_add_f64 v[161:162], v[161:162], -v[167:168]
	v_add_f64 v[241:242], v[72:73], v[48:49]
	v_fma_f64 v[191:192], v[197:198], -0.5, v[32:33]
	v_add_f64 v[133:134], v[133:134], -v[165:166]
	v_add_f64 v[219:220], v[44:45], v[175:176]
	v_add_f64 v[171:172], v[171:172], -v[46:47]
	v_add_f64 v[169:170], v[169:170], -v[177:178]
	;; [unrolled: 1-line block ×3, first 2 shown]
	v_fma_f64 v[139:140], v[201:202], -0.5, v[36:37]
	v_fma_f64 v[201:202], v[203:204], -0.5, v[38:39]
	v_add_f64 v[197:198], v[68:69], v[60:61]
	v_add_f64 v[243:244], v[70:71], v[185:186]
	v_add_f64 v[175:176], v[175:176], -v[74:75]
	v_add_f64 v[173:174], v[173:174], -v[179:180]
	v_add_f64 v[18:19], v[205:206], v[167:168]
	v_add_f64 v[16:17], v[207:208], v[165:166]
	v_fma_f64 v[165:166], v[215:216], -0.5, v[42:43]
	v_fma_f64 v[167:168], v[217:218], -0.5, v[44:45]
	v_add_f64 v[249:250], v[54:55], -v[183:184]
	v_add_f64 v[181:182], v[181:182], -v[159:160]
	v_add_f64 v[20:21], v[213:214], v[177:178]
	v_add_f64 v[24:25], v[221:222], v[179:180]
	v_fma_f64 v[177:178], v[223:224], -0.5, v[50:51]
	v_fma_f64 v[179:180], v[225:226], -0.5, v[52:53]
	;; [unrolled: 6-line block ×3, first 2 shown]
	v_add_f64 v[253:254], v[56:57], -v[40:41]
	v_fma_f64 v[203:204], v[149:150], -0.5, v[0:1]
	v_fma_f64 v[205:206], v[151:152], -0.5, v[2:3]
	v_add_f64 v[108:109], v[60:61], -v[76:77]
	v_add_f64 v[112:113], v[112:113], -v[62:63]
	v_fma_f64 v[106:107], v[106:107], -0.5, v[66:67]
	v_fma_f64 v[207:208], v[157:158], -0.5, v[68:69]
	v_add_f64 v[2:3], v[245:246], v[40:41]
	v_fma_f64 v[40:41], v[187:188], s[4:5], v[227:228]
	v_fma_f64 v[42:43], v[189:190], s[10:11], v[229:230]
	v_add_f64 v[22:23], v[211:212], v[46:47]
	v_fma_f64 v[44:45], v[187:188], s[10:11], v[227:228]
	v_fma_f64 v[46:47], v[189:190], s[4:5], v[229:230]
	v_fma_f64 v[48:49], v[147:148], s[4:5], v[235:236]
	v_fma_f64 v[50:51], v[145:146], s[10:11], v[239:240]
	v_fma_f64 v[52:53], v[147:148], s[10:11], v[235:236]
	v_fma_f64 v[54:55], v[145:146], s[4:5], v[239:240]
	v_add_f64 v[0:1], v[247:248], v[58:59]
	v_fma_f64 v[56:57], v[155:156], s[4:5], v[78:79]
	v_fma_f64 v[58:59], v[153:154], s[10:11], v[163:164]
	v_add_f64 v[36:37], v[199:200], v[62:63]
	v_fma_f64 v[60:61], v[155:156], s[10:11], v[78:79]
	v_fma_f64 v[62:63], v[153:154], s[4:5], v[163:164]
	;; [unrolled: 3-line block ×3, first 2 shown]
	v_fma_f64 v[68:69], v[161:162], s[10:11], v[191:192]
	v_fma_f64 v[70:71], v[133:134], s[4:5], v[193:194]
	v_add_f64 v[26:27], v[219:220], v[74:75]
	v_fma_f64 v[72:73], v[171:172], s[4:5], v[139:140]
	v_fma_f64 v[74:75], v[169:170], s[10:11], v[201:202]
	v_add_f64 v[38:39], v[197:198], v[76:77]
	;; [unrolled: 3-line block ×3, first 2 shown]
	v_fma_f64 v[137:138], v[175:176], s[4:5], v[165:166]
	v_fma_f64 v[139:140], v[173:174], s[10:11], v[167:168]
	;; [unrolled: 1-line block ×20, first 2 shown]
	v_add3_u32 v106, 0, v128, v114
	v_add3_u32 v107, 0, v132, v121
	;; [unrolled: 1-line block ×4, first 2 shown]
	s_waitcnt_vscnt null, 0x0
	s_barrier
	buffer_gl0_inv
	ds_store_b128 v238, v[4:7]
	ds_store_b128 v238, v[40:43] offset:2400
	ds_store_b128 v238, v[44:47] offset:4800
	ds_store_b128 v82, v[8:11]
	ds_store_b128 v82, v[48:51] offset:2400
	ds_store_b128 v82, v[52:55] offset:4800
	;; [unrolled: 3-line block ×9, first 2 shown]
	ds_store_b128 v125, v[36:39] offset:57600
	ds_store_b128 v125, v[169:172] offset:60000
	;; [unrolled: 1-line block ×3, first 2 shown]
	v_lshlrev_b32_e32 v0, 5, v117
	v_lshlrev_b32_e32 v1, 5, v110
	v_add_co_u32 v3, s0, s8, v120
	v_lshlrev_b32_e32 v2, 5, v111
	v_add_co_ci_u32_e64 v7, null, s9, 0, s0
	v_add_co_u32 v0, s0, s8, v0
	s_delay_alu instid0(VALU_DEP_1) | instskip(SKIP_1) | instid1(VALU_DEP_1)
	v_add_co_ci_u32_e64 v11, null, s9, 0, s0
	v_add_co_u32 v16, s0, s8, v1
	v_add_co_ci_u32_e64 v17, null, s9, 0, s0
	v_add_co_u32 v34, s0, s8, v2
	s_delay_alu instid0(VALU_DEP_1) | instskip(SKIP_1) | instid1(VALU_DEP_1)
	v_add_co_ci_u32_e64 v35, null, s9, 0, s0
	v_add_co_u32 v4, s0, 0x1000, v3
	v_add_co_ci_u32_e64 v5, s0, 0, v7, s0
	v_add_co_u32 v6, s0, 0x1b80, v3
	s_delay_alu instid0(VALU_DEP_1) | instskip(SKIP_1) | instid1(VALU_DEP_1)
	v_add_co_ci_u32_e64 v7, s0, 0, v7, s0
	v_add_co_u32 v8, s0, 0x1000, v0
	v_add_co_ci_u32_e64 v9, s0, 0, v11, s0
	v_add_co_u32 v10, s0, 0x1b80, v0
	s_delay_alu instid0(VALU_DEP_1) | instskip(SKIP_1) | instid1(VALU_DEP_1)
	v_add_co_ci_u32_e64 v11, s0, 0, v11, s0
	;; [unrolled: 5-line block ×3, first 2 shown]
	v_add_co_u32 v32, s0, 0x1000, v34
	v_add_co_ci_u32_e64 v33, s0, 0, v35, s0
	v_add_co_u32 v48, s0, 0x1b80, v34
	v_mov_b32_e32 v80, v135
	v_add_co_ci_u32_e64 v49, s0, 0, v35, s0
	s_waitcnt lgkmcnt(0)
	s_barrier
	buffer_gl0_inv
	s_clause 0x13
	global_load_b128 v[40:43], v[98:99], off offset:2944
	global_load_b128 v[52:55], v[100:101], off offset:2944
	global_load_b128 v[64:67], v[96:97], off offset:16
	global_load_b128 v[76:79], v[94:95], off offset:2944
	global_load_b128 v[44:47], v[102:103], off offset:16
	global_load_b128 v[72:75], v[92:93], off offset:16
	global_load_b128 v[68:71], v[104:105], off offset:2944
	global_load_b128 v[60:63], v[195:196], off offset:16
	global_load_b128 v[56:59], v[84:85], off offset:2944
	global_load_b128 v[36:39], v[88:89], off offset:16
	global_load_b128 v[24:27], v[86:87], off offset:2944
	global_load_b128 v[0:3], v[90:91], off offset:16
	global_load_b128 v[12:15], v[4:5], off offset:2944
	global_load_b128 v[4:7], v[6:7], off offset:16
	global_load_b128 v[16:19], v[8:9], off offset:2944
	global_load_b128 v[8:11], v[10:11], off offset:16
	global_load_b128 v[28:31], v[20:21], off offset:2944
	global_load_b128 v[20:23], v[22:23], off offset:16
	global_load_b128 v[32:35], v[32:33], off offset:2944
	global_load_b128 v[48:51], v[48:49], off offset:16
	scratch_store_b64 off, v[80:81], off offset:68 ; 8-byte Folded Spill
	s_clause 0x1
	scratch_load_b64 v[221:222], off, off offset:60
	scratch_load_b32 v80, off, off offset:16
	v_cmp_lt_u32_e64 s0, 44, v135
	v_lshlrev_b32_e32 v85, 4, v136
	ds_load_b128 v[133:136], v238 offset:43200
	ds_load_b128 v[141:144], v238 offset:45360
	;; [unrolled: 1-line block ×3, first 2 shown]
	v_cndmask_b32_e64 v84, 0, 0x5460, s0
	v_add_co_u32 v112, s0, 0x5000, v209
	s_delay_alu instid0(VALU_DEP_1)
	v_add_co_ci_u32_e64 v113, s0, 0, v210, s0
	scratch_load_b32 v82, off, off offset:40 ; 4-byte Folded Reload
	ds_load_b128 v[137:140], v238 offset:23760
	s_waitcnt vmcnt(19) lgkmcnt(1)
	v_mul_f64 v[207:208], v[147:148], v[78:79]
	s_waitcnt vmcnt(18)
	v_mul_f64 v[205:206], v[143:144], v[46:47]
	v_mul_f64 v[46:47], v[141:142], v[46:47]
	;; [unrolled: 1-line block ×3, first 2 shown]
	s_waitcnt vmcnt(1)
	v_lshlrev_b32_e32 v221, 1, v80
	v_add3_u32 v80, 0, v84, v85
	s_delay_alu instid0(VALU_DEP_2)
	v_lshlrev_b64 v[94:95], 4, v[221:222]
	scratch_store_b32 off, v80, off offset:16 ; 4-byte Folded Spill
	scratch_load_b32 v80, off, off offset:44 ; 4-byte Folded Reload
	v_fma_f64 v[46:47], v[143:144], v[44:45], -v[46:47]
	v_fma_f64 v[144:145], v[145:146], v[76:77], v[207:208]
	v_fma_f64 v[76:77], v[147:148], v[76:77], -v[78:79]
	s_waitcnt vmcnt(0)
	v_lshlrev_b32_e32 v221, 1, v80
	v_add_co_u32 v80, s0, 0x53c0, v209
	s_delay_alu instid0(VALU_DEP_1) | instskip(NEXT) | instid1(VALU_DEP_3)
	v_add_co_ci_u32_e64 v81, s0, 0, v210, s0
	v_lshlrev_b64 v[98:99], 4, v[221:222]
	v_add_co_u32 v86, s0, 0x5000, v115
	scratch_store_b64 off, v[80:81], off offset:44 ; 8-byte Folded Spill
	scratch_load_b32 v81, off, off offset:52 ; 4-byte Folded Reload
	v_add_co_ci_u32_e64 v87, s0, 0, v127, s0
	v_add_co_u32 v88, s0, 0x53c0, v115
	v_mul_u32_u24_e32 v80, 0x5460, v255
	v_add_co_ci_u32_e64 v89, s0, 0, v127, s0
	v_add_co_u32 v90, s0, 0x5000, v129
	s_delay_alu instid0(VALU_DEP_1) | instskip(SKIP_1) | instid1(VALU_DEP_1)
	v_add_co_ci_u32_e64 v91, s0, 0, v130, s0
	v_add_co_u32 v92, s0, 0x53c0, v129
	v_add_co_ci_u32_e64 v93, s0, 0, v130, s0
	ds_load_b128 v[129:132], v238 offset:21600
	v_lshl_add_u32 v255, v110, 4, 0
	s_waitcnt lgkmcnt(1)
	v_mul_f64 v[126:127], v[139:140], v[54:55]
	v_mul_f64 v[54:55], v[137:138], v[54:55]
	s_waitcnt lgkmcnt(0)
	v_mul_f64 v[110:111], v[131:132], v[42:43]
	v_mul_f64 v[42:43], v[129:130], v[42:43]
	s_delay_alu instid0(VALU_DEP_4) | instskip(NEXT) | instid1(VALU_DEP_3)
	v_fma_f64 v[126:127], v[137:138], v[52:53], v[126:127]
	v_fma_f64 v[110:111], v[129:130], v[40:41], v[110:111]
	s_delay_alu instid0(VALU_DEP_3) | instskip(SKIP_3) | instid1(VALU_DEP_1)
	v_fma_f64 v[128:129], v[131:132], v[40:41], -v[42:43]
	s_waitcnt vmcnt(0)
	v_lshlrev_b32_e32 v221, 1, v81
	v_add_co_u32 v81, s0, s8, v94
	v_add_co_ci_u32_e64 v97, s0, s9, v95, s0
	s_delay_alu instid0(VALU_DEP_3) | instskip(SKIP_3) | instid1(VALU_DEP_1)
	v_lshlrev_b64 v[102:103], 4, v[221:222]
	v_lshlrev_b32_e32 v221, 1, v82
	scratch_load_b32 v82, off, off offset:32 ; 4-byte Folded Reload
	v_add_co_u32 v94, s0, 0x5000, v81
	v_add_co_ci_u32_e64 v95, s0, 0, v97, s0
	v_lshlrev_b64 v[114:115], 4, v[221:222]
	v_add_co_u32 v96, s0, 0x53c0, v81
	s_delay_alu instid0(VALU_DEP_1) | instskip(SKIP_1) | instid1(VALU_DEP_1)
	v_add_co_ci_u32_e64 v97, s0, 0, v97, s0
	v_add_co_u32 v81, s0, s8, v98
	v_add_co_ci_u32_e64 v101, s0, s9, v99, s0
	s_delay_alu instid0(VALU_DEP_2) | instskip(NEXT) | instid1(VALU_DEP_1)
	v_add_co_u32 v98, s0, 0x5000, v81
	v_add_co_ci_u32_e64 v99, s0, 0, v101, s0
	v_add_co_u32 v100, s0, 0x53c0, v81
	s_delay_alu instid0(VALU_DEP_1)
	v_add_co_ci_u32_e64 v101, s0, 0, v101, s0
	v_add_co_u32 v81, s0, s8, v102
	v_lshl_add_u32 v102, v117, 4, 0
	v_mul_f64 v[116:117], v[135:136], v[66:67]
	v_mul_f64 v[66:67], v[133:134], v[66:67]
	v_add_co_ci_u32_e64 v107, s0, s9, v103, s0
	v_add_co_u32 v104, s0, 0x5000, v81
	s_delay_alu instid0(VALU_DEP_1) | instskip(SKIP_1) | instid1(VALU_DEP_1)
	v_add_co_ci_u32_e64 v105, s0, 0, v107, s0
	v_add_co_u32 v106, s0, 0x53c0, v81
	v_add_co_ci_u32_e64 v107, s0, 0, v107, s0
	v_add_co_u32 v84, s0, s8, v114
	s_delay_alu instid0(VALU_DEP_1)
	v_add_co_ci_u32_e64 v103, s0, s9, v115, s0
	v_fma_f64 v[116:117], v[133:134], v[64:65], v[116:117]
	v_fma_f64 v[132:133], v[135:136], v[64:65], -v[66:67]
	v_fma_f64 v[136:137], v[139:140], v[52:53], -v[54:55]
	v_fma_f64 v[140:141], v[141:142], v[44:45], v[205:206]
	s_waitcnt vmcnt(0)
	v_lshlrev_b32_e32 v221, 1, v82
	scratch_load_b32 v82, off, off offset:56 ; 4-byte Folded Reload
	s_waitcnt vmcnt(0)
	v_lshlrev_b32_e32 v108, 4, v82
	v_lshlrev_b64 v[82:83], 4, v[221:222]
	s_delay_alu instid0(VALU_DEP_2)
	v_add3_u32 v85, 0, v80, v108
	scratch_load_b32 v80, off, off offset:8 ; 4-byte Folded Reload
	scratch_store_b64 off, v[82:83], off offset:32 ; 8-byte Folded Spill
	scratch_load_b32 v82, off, off offset:24 ; 4-byte Folded Reload
	ds_load_b128 v[122:125], v238 offset:28080
	ds_load_b128 v[149:152], v238 offset:47520
	ds_load_b128 v[153:156], v238 offset:49680
	ds_load_b128 v[157:160], v238 offset:30240
	ds_load_b128 v[161:164], v238 offset:32400
	ds_load_b128 v[165:168], v238 offset:51840
	ds_load_b128 v[169:172], v238 offset:54000
	ds_load_b128 v[173:176], v238 offset:34560
	ds_load_b128 v[177:180], v238 offset:36720
	ds_load_b128 v[181:184], v238 offset:56160
	ds_load_b128 v[185:188], v238 offset:58320
	ds_load_b128 v[189:192], v238 offset:38880
	ds_load_b128 v[193:196], v238 offset:41040
	ds_load_b128 v[197:200], v238 offset:60480
	ds_load_b128 v[201:204], v238 offset:62640
	s_waitcnt lgkmcnt(11)
	v_mul_f64 v[217:218], v[159:160], v[58:59]
	v_mul_f64 v[211:212], v[151:152], v[74:75]
	;; [unrolled: 1-line block ×6, first 2 shown]
	s_waitcnt lgkmcnt(9)
	v_mul_f64 v[130:131], v[167:168], v[38:39]
	v_mul_f64 v[223:224], v[163:164], v[26:27]
	;; [unrolled: 1-line block ×3, first 2 shown]
	s_waitcnt lgkmcnt(8)
	v_mul_f64 v[134:135], v[171:172], v[2:3]
	v_mul_f64 v[2:3], v[169:170], v[2:3]
	s_waitcnt lgkmcnt(7)
	v_mul_f64 v[225:226], v[175:176], v[14:15]
	v_mul_f64 v[14:15], v[173:174], v[14:15]
	;; [unrolled: 3-line block ×3, first 2 shown]
	v_mul_f64 v[227:228], v[179:180], v[18:19]
	v_mul_f64 v[18:19], v[177:178], v[18:19]
	s_waitcnt lgkmcnt(2)
	v_mul_f64 v[229:230], v[193:194], v[34:35]
	v_mul_f64 v[213:214], v[124:125], v[70:71]
	;; [unrolled: 1-line block ×7, first 2 shown]
	s_waitcnt lgkmcnt(1)
	v_mul_f64 v[78:79], v[199:200], v[22:23]
	v_mul_f64 v[146:147], v[197:198], v[22:23]
	;; [unrolled: 1-line block ×3, first 2 shown]
	v_fma_f64 v[148:149], v[149:150], v[72:73], v[211:212]
	v_fma_f64 v[74:75], v[151:152], v[72:73], -v[74:75]
	s_waitcnt lgkmcnt(0)
	v_mul_f64 v[150:151], v[203:204], v[50:51]
	v_mul_f64 v[211:212], v[201:202], v[50:51]
	v_fma_f64 v[152:153], v[153:154], v[60:61], v[215:216]
	v_fma_f64 v[154:155], v[155:156], v[60:61], -v[62:63]
	v_fma_f64 v[156:157], v[157:158], v[56:57], v[217:218]
	v_fma_f64 v[158:159], v[159:160], v[56:57], -v[219:220]
	v_fma_f64 v[130:131], v[165:166], v[36:37], v[130:131]
	v_fma_f64 v[160:161], v[161:162], v[24:25], v[223:224]
	v_fma_f64 v[26:27], v[163:164], v[24:25], -v[26:27]
	v_fma_f64 v[162:163], v[171:172], v[0:1], -v[2:3]
	v_fma_f64 v[2:3], v[175:176], v[12:13], -v[14:15]
	v_fma_f64 v[138:139], v[181:182], v[4:5], v[138:139]
	v_fma_f64 v[134:135], v[169:170], v[0:1], v[134:135]
	;; [unrolled: 1-line block ×3, first 2 shown]
	v_fma_f64 v[14:15], v[195:196], v[32:33], -v[229:230]
	v_fma_f64 v[122:123], v[122:123], v[68:69], v[213:214]
	v_fma_f64 v[124:125], v[124:125], v[68:69], -v[70:71]
	v_fma_f64 v[142:143], v[185:186], v[8:9], v[142:143]
	;; [unrolled: 2-line block ×5, first 2 shown]
	v_add_f64 v[32:33], v[126:127], v[140:141]
	v_add_f64 v[175:176], v[144:145], v[148:149]
	v_fma_f64 v[146:147], v[201:202], v[48:49], v[150:151]
	v_add_f64 v[150:151], v[136:137], v[46:47]
	v_fma_f64 v[48:49], v[203:204], v[48:49], -v[211:212]
	v_add_f64 v[191:192], v[156:157], v[130:131]
	v_add_f64 v[201:202], v[26:27], v[162:163]
	v_add_f64 v[207:208], v[26:27], -v[162:163]
	v_add_f64 v[199:200], v[160:161], v[134:135]
	v_add_f64 v[211:212], v[0:1], v[138:139]
	;; [unrolled: 1-line block ×5, first 2 shown]
	v_add_f64 v[209:210], v[10:11], -v[20:21]
	v_add_f64 v[108:109], v[8:9], -v[78:79]
	v_add_f64 v[245:246], v[12:13], v[146:147]
	v_add_f64 v[120:121], v[12:13], -v[146:147]
	v_add_f64 v[247:248], v[14:15], v[48:49]
	s_waitcnt vmcnt(0)
	v_lshlrev_b32_e32 v221, 1, v82
	v_add_f64 v[82:83], v[0:1], -v[138:139]
	s_delay_alu instid0(VALU_DEP_2)
	v_lshlrev_b64 v[114:115], 4, v[221:222]
	v_lshlrev_b32_e32 v221, 1, v80
	v_mul_f64 v[80:81], v[165:166], v[38:39]
	ds_load_b128 v[38:41], v238
	ds_load_b128 v[42:45], v238 offset:2160
	ds_load_b128 v[50:53], v238 offset:4320
	;; [unrolled: 1-line block ×5, first 2 shown]
	s_waitcnt lgkmcnt(5)
	v_add_f64 v[28:29], v[40:41], v[128:129]
	v_add_f64 v[30:31], v[38:39], v[110:111]
	s_waitcnt lgkmcnt(4)
	v_add_f64 v[173:174], v[42:43], v[126:127]
	v_add_f64 v[171:172], v[44:45], v[136:137]
	v_add_f64 v[136:137], v[136:137], -v[46:47]
	v_add_f64 v[126:127], v[126:127], -v[140:141]
	s_waitcnt lgkmcnt(2)
	v_add_f64 v[187:188], v[60:61], v[124:125]
	v_add_f64 v[189:190], v[58:59], v[122:123]
	;; [unrolled: 1-line block ×3, first 2 shown]
	v_add_f64 v[144:145], v[144:145], -v[148:149]
	s_waitcnt lgkmcnt(1)
	v_add_f64 v[195:196], v[56:57], v[158:159]
	v_add_f64 v[197:198], v[54:55], v[156:157]
	v_add_f64 v[124:125], v[124:125], -v[154:155]
	v_add_f64 v[156:157], v[156:157], -v[130:131]
	s_waitcnt lgkmcnt(0)
	v_add_f64 v[203:204], v[64:65], v[26:27]
	v_add_f64 v[205:206], v[62:63], v[160:161]
	v_add_f64 v[160:161], v[160:161], -v[134:135]
	v_fma_f64 v[165:166], v[167:168], v[36:37], -v[80:81]
	v_fma_f64 v[167:168], v[183:184], v[4:5], -v[6:7]
	v_fma_f64 v[4:5], v[177:178], v[16:17], v[227:228]
	v_fma_f64 v[6:7], v[179:180], v[16:17], -v[18:19]
	v_add_f64 v[16:17], v[110:111], v[116:117]
	v_add_f64 v[18:19], v[128:129], v[132:133]
	;; [unrolled: 1-line block ×3, first 2 shown]
	ds_load_b128 v[34:37], v238 offset:12960
	ds_load_b128 v[66:69], v238 offset:15120
	;; [unrolled: 1-line block ×4, first 2 shown]
	v_add_f64 v[128:129], v[128:129], -v[132:133]
	v_add_f64 v[110:111], v[110:111], -v[116:117]
	v_add_f64 v[179:180], v[52:53], v[76:77]
	v_add_f64 v[76:77], v[76:77], -v[74:75]
	v_add_f64 v[183:184], v[122:123], v[152:153]
	v_add_f64 v[80:81], v[14:15], -v[48:49]
	v_add_f64 v[122:123], v[122:123], -v[152:153]
	s_waitcnt lgkmcnt(0)
	s_waitcnt_vscnt null, 0x0
	s_barrier
	buffer_gl0_inv
	v_add_f64 v[215:216], v[36:37], v[2:3]
	v_add_f64 v[217:218], v[34:35], v[0:1]
	;; [unrolled: 1-line block ×3, first 2 shown]
	v_fma_f64 v[116:117], v[32:33], -0.5, v[42:43]
	v_add_f64 v[253:254], v[70:71], v[12:13]
	v_add_f64 v[12:13], v[189:190], v[152:153]
	v_fma_f64 v[152:153], v[191:192], -0.5, v[54:55]
	v_add_f64 v[241:242], v[24:25], v[10:11]
	v_add_f64 v[243:244], v[22:23], v[8:9]
	;; [unrolled: 1-line block ×3, first 2 shown]
	v_fma_f64 v[148:149], v[185:186], -0.5, v[60:61]
	v_fma_f64 v[24:25], v[239:240], -0.5, v[24:25]
	v_add_f64 v[193:194], v[158:159], v[165:166]
	v_add_f64 v[213:214], v[2:3], v[167:168]
	v_add_f64 v[219:220], v[2:3], -v[167:168]
	v_add_f64 v[2:3], v[28:29], v[132:133]
	v_fma_f64 v[249:250], v[16:17], -0.5, v[38:39]
	v_fma_f64 v[251:252], v[18:19], -0.5, v[40:41]
	v_add_f64 v[38:39], v[72:73], v[14:15]
	v_fma_f64 v[132:133], v[150:151], -0.5, v[44:45]
	v_add_f64 v[223:224], v[4:5], v[142:143]
	v_add_f64 v[229:230], v[66:67], v[4:5]
	v_add_f64 v[233:234], v[4:5], -v[142:143]
	v_add_f64 v[4:5], v[173:174], v[140:141]
	v_fma_f64 v[140:141], v[175:176], -0.5, v[50:51]
	v_fma_f64 v[150:151], v[177:178], -0.5, v[52:53]
	v_add_f64 v[225:226], v[6:7], v[169:170]
	v_add_f64 v[227:228], v[68:69], v[6:7]
	v_add_f64 v[231:232], v[6:7], -v[169:170]
	v_add_f64 v[6:7], v[171:172], v[46:47]
	v_add_f64 v[14:15], v[187:188], v[154:155]
	;; [unrolled: 1-line block ×3, first 2 shown]
	v_fma_f64 v[74:75], v[183:184], -0.5, v[58:59]
	v_add_f64 v[158:159], v[158:159], -v[165:166]
	v_add_f64 v[18:19], v[195:196], v[165:166]
	v_add_f64 v[16:17], v[197:198], v[130:131]
	v_fma_f64 v[130:131], v[199:200], -0.5, v[62:63]
	v_fma_f64 v[164:165], v[201:202], -0.5, v[64:65]
	v_add_f64 v[28:29], v[203:204], v[162:163]
	v_fma_f64 v[162:163], v[211:212], -0.5, v[34:35]
	v_add_f64 v[32:33], v[215:216], v[167:168]
	v_fma_f64 v[54:55], v[136:137], s[10:11], v[116:117]
	v_fma_f64 v[50:51], v[136:137], s[4:5], v[116:117]
	v_fma_f64 v[175:176], v[247:248], -0.5, v[72:73]
	v_add_f64 v[26:27], v[205:206], v[134:135]
	v_add_f64 v[30:31], v[217:218], v[138:139]
	v_fma_f64 v[72:73], v[122:123], s[4:5], v[148:149]
	v_fma_f64 v[154:155], v[193:194], -0.5, v[56:57]
	v_fma_f64 v[171:172], v[213:214], -0.5, v[36:37]
	v_fma_f64 v[46:47], v[128:129], s[10:11], v[249:250]
	v_fma_f64 v[42:43], v[128:129], s[4:5], v[249:250]
	v_add_f64 v[40:41], v[38:39], v[48:49]
	v_fma_f64 v[48:49], v[110:111], s[4:5], v[251:252]
	v_fma_f64 v[56:57], v[126:127], s[4:5], v[132:133]
	;; [unrolled: 1-line block ×4, first 2 shown]
	v_fma_f64 v[166:167], v[223:224], -0.5, v[66:67]
	v_fma_f64 v[58:59], v[76:77], s[4:5], v[140:141]
	v_fma_f64 v[60:61], v[144:145], s[10:11], v[150:151]
	;; [unrolled: 1-line block ×4, first 2 shown]
	ds_store_b128 v238, v[0:3]
	ds_store_b128 v238, v[4:7] offset:2160
	ds_store_b128 v238, v[46:49] offset:14400
	;; [unrolled: 1-line block ×8, first 2 shown]
	scratch_load_b32 v0, off, off offset:16 ; 4-byte Folded Reload
	v_fma_f64 v[173:174], v[225:226], -0.5, v[68:69]
	v_add_f64 v[36:37], v[227:228], v[169:170]
	v_fma_f64 v[168:169], v[235:236], -0.5, v[22:23]
	v_add_f64 v[22:23], v[241:242], v[20:21]
	v_add_f64 v[20:21], v[243:244], v[78:79]
	v_fma_f64 v[78:79], v[245:246], -0.5, v[70:71]
	v_fma_f64 v[66:67], v[124:125], s[4:5], v[74:75]
	v_fma_f64 v[68:69], v[122:123], s[10:11], v[148:149]
	;; [unrolled: 1-line block ×15, first 2 shown]
	v_add_f64 v[34:35], v[229:230], v[142:143]
	v_fma_f64 v[142:143], v[231:232], s[4:5], v[166:167]
	v_add_f64 v[38:39], v[253:254], v[146:147]
	v_fma_f64 v[146:147], v[231:232], s[10:11], v[166:167]
	v_fma_f64 v[152:153], v[108:109], s[10:11], v[24:25]
	;; [unrolled: 1-line block ×5, first 2 shown]
	v_lshlrev_b64 v[56:57], 4, v[221:222]
	v_fma_f64 v[144:145], v[233:234], s[10:11], v[173:174]
	v_fma_f64 v[148:149], v[233:234], s[4:5], v[173:174]
	;; [unrolled: 1-line block ×6, first 2 shown]
	s_waitcnt vmcnt(0)
	ds_store_b128 v0, v[12:15]
	ds_store_b128 v0, v[66:69] offset:7200
	ds_store_b128 v0, v[70:73] offset:14400
	;; [unrolled: 1-line block ×8, first 2 shown]
	ds_store_b128 v85, v[30:33]
	ds_store_b128 v85, v[134:137] offset:7200
	ds_store_b128 v85, v[138:141] offset:14400
	;; [unrolled: 1-line block ×11, first 2 shown]
	s_waitcnt lgkmcnt(0)
	s_barrier
	buffer_gl0_inv
	global_load_b128 v[0:3], v[112:113], off offset:960
	scratch_load_b64 v[4:5], off, off offset:32 ; 8-byte Folded Reload
	v_add_co_u32 v78, s0, 0x5000, v84
	s_delay_alu instid0(VALU_DEP_1) | instskip(SKIP_1) | instid1(VALU_DEP_1)
	v_add_co_ci_u32_e64 v79, s0, 0, v103, s0
	v_add_co_u32 v80, s0, 0x53c0, v84
	v_add_co_ci_u32_e64 v81, s0, 0, v103, s0
	s_waitcnt vmcnt(0)
	v_add_co_u32 v8, s0, s8, v4
	s_delay_alu instid0(VALU_DEP_1) | instskip(SKIP_2) | instid1(VALU_DEP_1)
	v_add_co_ci_u32_e64 v9, s0, s9, v5, s0
	scratch_load_b64 v[4:5], off, off offset:44 ; 8-byte Folded Reload
	v_add_co_u32 v58, s0, 0x5000, v8
	v_add_co_ci_u32_e64 v59, s0, 0, v9, s0
	v_add_co_u32 v60, s0, 0x53c0, v8
	s_delay_alu instid0(VALU_DEP_1) | instskip(SKIP_1) | instid1(VALU_DEP_1)
	v_add_co_ci_u32_e64 v61, s0, 0, v9, s0
	v_add_co_u32 v40, s0, s8, v114
	v_add_co_ci_u32_e64 v41, s0, s9, v115, s0
	global_load_b128 v[8:11], v[86:87], off offset:960
	v_add_co_u32 v64, s0, 0x5000, v40
	s_delay_alu instid0(VALU_DEP_1) | instskip(SKIP_1) | instid1(VALU_DEP_1)
	v_add_co_ci_u32_e64 v65, s0, 0, v41, s0
	v_add_co_u32 v68, s0, 0x53c0, v40
	v_add_co_ci_u32_e64 v69, s0, 0, v41, s0
	v_add_co_u32 v74, s0, s8, v56
	s_delay_alu instid0(VALU_DEP_1) | instskip(NEXT) | instid1(VALU_DEP_2)
	v_add_co_ci_u32_e64 v75, s0, s9, v57, s0
	v_add_co_u32 v72, s0, 0x5000, v74
	s_delay_alu instid0(VALU_DEP_1) | instskip(SKIP_1) | instid1(VALU_DEP_1)
	v_add_co_ci_u32_e64 v73, s0, 0, v75, s0
	v_add_co_u32 v76, s0, 0x53c0, v74
	v_add_co_ci_u32_e64 v77, s0, 0, v75, s0
	s_waitcnt vmcnt(1)
	s_clause 0x11
	global_load_b128 v[4:7], v[4:5], off offset:16
	global_load_b128 v[12:15], v[88:89], off offset:16
	;; [unrolled: 1-line block ×18, first 2 shown]
	ds_load_b128 v[82:85], v238 offset:21600
	ds_load_b128 v[86:89], v238 offset:43200
	;; [unrolled: 1-line block ×20, first 2 shown]
	ds_load_b128 v[170:173], v238
	ds_load_b128 v[174:177], v238 offset:2160
	ds_load_b128 v[178:181], v238 offset:4320
	ds_load_b128 v[182:185], v238 offset:6480
	s_waitcnt lgkmcnt(23)
	v_mul_f64 v[80:81], v[84:85], v[2:3]
	v_mul_f64 v[2:3], v[82:83], v[2:3]
	s_waitcnt vmcnt(18) lgkmcnt(21)
	v_mul_f64 v[116:117], v[92:93], v[10:11]
	v_mul_f64 v[10:11], v[90:91], v[10:11]
	s_delay_alu instid0(VALU_DEP_4) | instskip(NEXT) | instid1(VALU_DEP_4)
	v_fma_f64 v[80:81], v[82:83], v[0:1], v[80:81]
	v_fma_f64 v[82:83], v[84:85], v[0:1], -v[2:3]
	s_delay_alu instid0(VALU_DEP_4) | instskip(NEXT) | instid1(VALU_DEP_4)
	v_fma_f64 v[90:91], v[90:91], v[8:9], v[116:117]
	v_fma_f64 v[92:93], v[92:93], v[8:9], -v[10:11]
	s_waitcnt vmcnt(16) lgkmcnt(20)
	v_mul_f64 v[120:121], v[96:97], v[14:15]
	v_mul_f64 v[114:115], v[88:89], v[6:7]
	;; [unrolled: 1-line block ×4, first 2 shown]
	s_waitcnt vmcnt(15) lgkmcnt(19)
	v_mul_f64 v[186:187], v[100:101], v[18:19]
	v_mul_f64 v[18:19], v[98:99], v[18:19]
	s_waitcnt vmcnt(14) lgkmcnt(17)
	v_mul_f64 v[188:189], v[108:109], v[22:23]
	v_mul_f64 v[22:23], v[106:107], v[22:23]
	s_waitcnt vmcnt(13)
	v_mul_f64 v[190:191], v[104:105], v[26:27]
	v_mul_f64 v[26:27], v[102:103], v[26:27]
	s_waitcnt vmcnt(12) lgkmcnt(16)
	v_mul_f64 v[192:193], v[112:113], v[30:31]
	v_mul_f64 v[30:31], v[110:111], v[30:31]
	s_waitcnt vmcnt(11) lgkmcnt(15)
	v_mul_f64 v[194:195], v[124:125], v[34:35]
	v_mul_f64 v[34:35], v[122:123], v[34:35]
	s_waitcnt vmcnt(10) lgkmcnt(13)
	v_mul_f64 v[196:197], v[132:133], v[38:39]
	v_mul_f64 v[38:39], v[130:131], v[38:39]
	s_waitcnt vmcnt(9)
	v_mul_f64 v[198:199], v[128:129], v[42:43]
	v_mul_f64 v[42:43], v[126:127], v[42:43]
	s_waitcnt vmcnt(8) lgkmcnt(12)
	v_mul_f64 v[200:201], v[136:137], v[46:47]
	v_mul_f64 v[46:47], v[134:135], v[46:47]
	;; [unrolled: 12-line block ×3, first 2 shown]
	s_waitcnt vmcnt(2) lgkmcnt(5)
	v_mul_f64 v[208:209], v[164:165], v[70:71]
	v_mul_f64 v[70:71], v[162:163], v[70:71]
	s_waitcnt vmcnt(1)
	v_mul_f64 v[116:117], v[160:161], v[74:75]
	v_mul_f64 v[74:75], v[158:159], v[74:75]
	s_waitcnt vmcnt(0) lgkmcnt(4)
	v_mul_f64 v[210:211], v[168:169], v[78:79]
	v_mul_f64 v[78:79], v[166:167], v[78:79]
	v_fma_f64 v[94:95], v[94:95], v[12:13], v[120:121]
	v_fma_f64 v[86:87], v[86:87], v[4:5], v[114:115]
	v_mul_f64 v[114:115], v[156:157], v[66:67]
	v_mul_f64 v[66:67], v[154:155], v[66:67]
	v_fma_f64 v[88:89], v[88:89], v[4:5], -v[6:7]
	v_fma_f64 v[96:97], v[96:97], v[12:13], -v[14:15]
	v_fma_f64 v[98:99], v[98:99], v[16:17], v[186:187]
	v_fma_f64 v[100:101], v[100:101], v[16:17], -v[18:19]
	v_fma_f64 v[106:107], v[106:107], v[20:21], v[188:189]
	v_fma_f64 v[108:109], v[108:109], v[20:21], -v[22:23]
	v_fma_f64 v[102:103], v[102:103], v[24:25], v[190:191]
	v_fma_f64 v[24:25], v[104:105], v[24:25], -v[26:27]
	v_fma_f64 v[104:105], v[110:111], v[28:29], v[192:193]
	v_fma_f64 v[110:111], v[112:113], v[28:29], -v[30:31]
	v_fma_f64 v[26:27], v[122:123], v[32:33], v[194:195]
	v_fma_f64 v[28:29], v[124:125], v[32:33], -v[34:35]
	v_fma_f64 v[112:113], v[130:131], v[36:37], v[196:197]
	v_fma_f64 v[120:121], v[132:133], v[36:37], -v[38:39]
	v_fma_f64 v[30:31], v[126:127], v[40:41], v[198:199]
	v_fma_f64 v[32:33], v[128:129], v[40:41], -v[42:43]
	v_fma_f64 v[40:41], v[134:135], v[44:45], v[200:201]
	v_fma_f64 v[42:43], v[136:137], v[44:45], -v[46:47]
	v_fma_f64 v[34:35], v[138:139], v[48:49], v[202:203]
	v_fma_f64 v[36:37], v[140:141], v[48:49], -v[50:51]
	v_fma_f64 v[44:45], v[146:147], v[52:53], v[204:205]
	v_fma_f64 v[46:47], v[148:149], v[52:53], -v[54:55]
	v_fma_f64 v[38:39], v[142:143], v[56:57], v[84:85]
	v_fma_f64 v[48:49], v[144:145], v[56:57], -v[58:59]
	v_fma_f64 v[50:51], v[150:151], v[60:61], v[206:207]
	v_fma_f64 v[52:53], v[152:153], v[60:61], -v[62:63]
	v_fma_f64 v[58:59], v[162:163], v[68:69], v[208:209]
	v_fma_f64 v[60:61], v[164:165], v[68:69], -v[70:71]
	v_fma_f64 v[62:63], v[158:159], v[72:73], v[116:117]
	v_fma_f64 v[68:69], v[168:169], v[76:77], -v[78:79]
	ds_load_b128 v[0:3], v238 offset:8640
	ds_load_b128 v[4:7], v238 offset:10800
	ds_load_b128 v[8:11], v238 offset:12960
	ds_load_b128 v[12:15], v238 offset:15120
	ds_load_b128 v[16:19], v238 offset:17280
	ds_load_b128 v[20:23], v238 offset:19440
	s_waitcnt lgkmcnt(8)
	v_add_f64 v[116:117], v[174:175], v[90:91]
	s_waitcnt lgkmcnt(0)
	v_add_f64 v[70:71], v[80:81], v[86:87]
	v_fma_f64 v[54:55], v[154:155], v[64:65], v[114:115]
	v_fma_f64 v[56:57], v[156:157], v[64:65], -v[66:67]
	v_fma_f64 v[64:65], v[160:161], v[72:73], -v[74:75]
	v_fma_f64 v[66:67], v[166:167], v[76:77], v[210:211]
	v_add_f64 v[72:73], v[82:83], v[88:89]
	v_add_f64 v[74:75], v[172:173], v[82:83]
	v_add_f64 v[78:79], v[82:83], -v[88:89]
	v_add_f64 v[82:83], v[90:91], v[94:95]
	v_add_f64 v[84:85], v[92:93], v[96:97]
	v_add_f64 v[76:77], v[170:171], v[80:81]
	v_add_f64 v[122:123], v[98:99], v[106:107]
	v_add_f64 v[124:125], v[100:101], v[108:109]
	v_add_f64 v[130:131], v[102:103], v[104:105]
	v_add_f64 v[132:133], v[24:25], v[110:111]
	v_add_f64 v[140:141], v[26:27], v[112:113]
	v_add_f64 v[142:143], v[28:29], v[120:121]
	v_add_f64 v[114:115], v[176:177], v[92:93]
	v_add_f64 v[128:129], v[178:179], v[98:99]
	v_add_f64 v[152:153], v[30:31], v[40:41]
	v_add_f64 v[154:155], v[32:33], v[42:43]
	v_add_f64 v[136:137], v[182:183], v[102:103]
	v_add_f64 v[126:127], v[180:181], v[100:101]
	v_add_f64 v[164:165], v[34:35], v[44:45]
	v_add_f64 v[166:167], v[36:37], v[46:47]
	v_add_f64 v[134:135], v[184:185], v[24:25]
	v_add_f64 v[146:147], v[0:1], v[26:27]
	v_add_f64 v[192:193], v[38:39], v[50:51]
	v_add_f64 v[194:195], v[48:49], v[52:53]
	v_add_f64 v[196:197], v[14:15], v[48:49]
	v_add_f64 v[200:201], v[48:49], -v[52:53]
	v_add_f64 v[144:145], v[2:3], v[28:29]
	v_add_f64 v[156:157], v[6:7], v[32:33]
	;; [unrolled: 1-line block ×7, first 2 shown]
	v_add_f64 v[80:81], v[80:81], -v[86:87]
	v_add_f64 v[48:49], v[54:55], v[58:59]
	v_add_f64 v[204:205], v[56:57], v[60:61]
	;; [unrolled: 1-line block ×4, first 2 shown]
	v_add_f64 v[210:211], v[56:57], -v[60:61]
	v_add_f64 v[212:213], v[54:55], -v[58:59]
	v_add_f64 v[54:55], v[62:63], v[66:67]
	v_add_f64 v[56:57], v[64:65], v[68:69]
	;; [unrolled: 1-line block ×3, first 2 shown]
	v_add_f64 v[218:219], v[64:65], -v[68:69]
	v_add_f64 v[220:221], v[62:63], -v[66:67]
	v_fma_f64 v[62:63], v[70:71], -0.5, v[170:171]
	v_fma_f64 v[64:65], v[72:73], -0.5, v[172:173]
	v_add_f64 v[92:93], v[92:93], -v[96:97]
	v_add_f64 v[90:91], v[90:91], -v[94:95]
	v_fma_f64 v[70:71], v[82:83], -0.5, v[174:175]
	v_fma_f64 v[72:73], v[84:85], -0.5, v[176:177]
	v_add_f64 v[100:101], v[100:101], -v[108:109]
	v_add_f64 v[98:99], v[98:99], -v[106:107]
	;; [unrolled: 1-line block ×4, first 2 shown]
	v_add_f64 v[26:27], v[74:75], v[88:89]
	v_add_f64 v[24:25], v[76:77], v[86:87]
	v_fma_f64 v[74:75], v[122:123], -0.5, v[178:179]
	v_fma_f64 v[76:77], v[124:125], -0.5, v[180:181]
	v_add_f64 v[102:103], v[102:103], -v[104:105]
	v_fma_f64 v[82:83], v[130:131], -0.5, v[182:183]
	v_fma_f64 v[84:85], v[132:133], -0.5, v[184:185]
	v_add_f64 v[148:149], v[28:29], -v[120:121]
	;; [unrolled: 3-line block ×3, first 2 shown]
	v_add_f64 v[162:163], v[30:31], -v[40:41]
	v_add_f64 v[30:31], v[114:115], v[96:97]
	v_add_f64 v[28:29], v[116:117], v[94:95]
	v_fma_f64 v[94:95], v[152:153], -0.5, v[4:5]
	v_fma_f64 v[96:97], v[154:155], -0.5, v[6:7]
	v_add_f64 v[188:189], v[36:37], -v[46:47]
	v_add_f64 v[190:191], v[34:35], -v[44:45]
	v_add_f64 v[32:33], v[128:129], v[106:107]
	v_add_f64 v[36:37], v[136:137], v[104:105]
	v_fma_f64 v[104:105], v[164:165], -0.5, v[8:9]
	v_fma_f64 v[106:107], v[166:167], -0.5, v[10:11]
	v_add_f64 v[202:203], v[38:39], -v[50:51]
	v_add_f64 v[34:35], v[126:127], v[108:109]
	v_add_f64 v[38:39], v[134:135], v[110:111]
	v_fma_f64 v[108:109], v[192:193], -0.5, v[12:13]
	v_fma_f64 v[110:111], v[194:195], -0.5, v[14:15]
	v_add_f64 v[0:1], v[146:147], v[112:113]
	v_fma_f64 v[112:113], v[48:49], -0.5, v[16:17]
	v_fma_f64 v[114:115], v[204:205], -0.5, v[18:19]
	;; [unrolled: 3-line block ×3, first 2 shown]
	v_add_f64 v[6:7], v[156:157], v[42:43]
	v_add_f64 v[4:5], v[158:159], v[40:41]
	;; [unrolled: 1-line block ×10, first 2 shown]
	v_fma_f64 v[40:41], v[78:79], s[4:5], v[62:63]
	v_fma_f64 v[42:43], v[80:81], s[10:11], v[64:65]
	;; [unrolled: 1-line block ×40, first 2 shown]
	s_barrier
	buffer_gl0_inv
	ds_store_b128 v238, v[24:27]
	ds_store_b128 v238, v[28:31] offset:2160
	ds_store_b128 v238, v[32:35] offset:4320
	;; [unrolled: 1-line block ×29, first 2 shown]
	s_waitcnt lgkmcnt(0)
	s_barrier
	buffer_gl0_inv
	s_and_saveexec_b32 s0, vcc_lo
	s_cbranch_execz .LBB0_21
; %bb.20:
	scratch_load_b64 v[4:5], off, off       ; 8-byte Folded Reload
	v_lshlrev_b64 v[8:9], 4, v[118:119]
	v_mov_b32_e32 v36, v222
	s_waitcnt vmcnt(0)
	v_mul_lo_u32 v2, s3, v4
	v_mul_lo_u32 v3, s2, v5
	v_mad_u64_u32 v[0:1], null, s2, v4, 0
	scratch_load_b64 v[4:5], off, off offset:68 ; 8-byte Folded Reload
	v_add3_u32 v1, v1, v3, v2
	s_delay_alu instid0(VALU_DEP_1) | instskip(NEXT) | instid1(VALU_DEP_1)
	v_lshlrev_b64 v[12:13], 4, v[0:1]
	v_add_co_u32 v12, vcc_lo, s6, v12
	s_delay_alu instid0(VALU_DEP_2) | instskip(SKIP_2) | instid1(VALU_DEP_1)
	v_add_co_ci_u32_e32 v13, vcc_lo, s7, v13, vcc_lo
	s_waitcnt vmcnt(0)
	v_mov_b32_e32 v35, v4
	v_lshlrev_b64 v[10:11], 4, v[35:36]
	v_add_co_u32 v36, vcc_lo, v12, v8
	v_lshl_add_u32 v34, v35, 4, 0
	v_add_nc_u32_e32 v221, 0x87, v35
	v_add_co_ci_u32_e32 v37, vcc_lo, v13, v9, vcc_lo
	s_delay_alu instid0(VALU_DEP_4)
	v_add_co_u32 v20, vcc_lo, v36, v10
	ds_load_b128 v[0:3], v34
	ds_load_b128 v[4:7], v34 offset:2160
	v_lshlrev_b64 v[16:17], 4, v[221:222]
	v_add_nc_u32_e32 v221, 0x10e, v35
	v_add_co_ci_u32_e32 v21, vcc_lo, v37, v11, vcc_lo
	ds_load_b128 v[8:11], v34 offset:4320
	ds_load_b128 v[12:15], v34 offset:6480
	v_lshlrev_b64 v[18:19], 4, v[221:222]
	v_add_nc_u32_e32 v221, 0x195, v35
	v_add_co_u32 v16, vcc_lo, v36, v16
	v_add_co_ci_u32_e32 v17, vcc_lo, v37, v17, vcc_lo
	s_delay_alu instid0(VALU_DEP_3) | instskip(SKIP_3) | instid1(VALU_DEP_4)
	v_lshlrev_b64 v[22:23], 4, v[221:222]
	v_add_nc_u32_e32 v221, 0x21c, v35
	v_add_co_u32 v18, vcc_lo, v36, v18
	v_add_co_ci_u32_e32 v19, vcc_lo, v37, v19, vcc_lo
	v_add_co_u32 v22, vcc_lo, v36, v22
	s_delay_alu instid0(VALU_DEP_4)
	v_lshlrev_b64 v[24:25], 4, v[221:222]
	v_add_nc_u32_e32 v221, 0x2a3, v35
	v_add_co_ci_u32_e32 v23, vcc_lo, v37, v23, vcc_lo
	s_waitcnt lgkmcnt(3)
	global_store_b128 v[20:21], v[0:3], off
	s_waitcnt lgkmcnt(2)
	global_store_b128 v[16:17], v[4:7], off
	s_waitcnt lgkmcnt(1)
	global_store_b128 v[18:19], v[8:11], off
	s_waitcnt lgkmcnt(0)
	global_store_b128 v[22:23], v[12:15], off
	ds_load_b128 v[0:3], v34 offset:8640
	ds_load_b128 v[4:7], v34 offset:10800
	v_lshlrev_b64 v[16:17], 4, v[221:222]
	v_add_nc_u32_e32 v221, 0x32a, v35
	ds_load_b128 v[8:11], v34 offset:12960
	ds_load_b128 v[12:15], v34 offset:15120
	v_add_co_u32 v18, vcc_lo, v36, v24
	v_add_co_ci_u32_e32 v19, vcc_lo, v37, v25, vcc_lo
	v_lshlrev_b64 v[20:21], 4, v[221:222]
	v_add_nc_u32_e32 v221, 0x3b1, v35
	v_add_co_u32 v16, vcc_lo, v36, v16
	v_add_co_ci_u32_e32 v17, vcc_lo, v37, v17, vcc_lo
	s_delay_alu instid0(VALU_DEP_3) | instskip(SKIP_3) | instid1(VALU_DEP_4)
	v_lshlrev_b64 v[22:23], 4, v[221:222]
	v_add_nc_u32_e32 v221, 0x438, v35
	v_add_co_u32 v20, vcc_lo, v36, v20
	v_add_co_ci_u32_e32 v21, vcc_lo, v37, v21, vcc_lo
	v_add_co_u32 v22, vcc_lo, v36, v22
	s_delay_alu instid0(VALU_DEP_4)
	v_lshlrev_b64 v[24:25], 4, v[221:222]
	v_add_nc_u32_e32 v221, 0x4bf, v35
	v_add_co_ci_u32_e32 v23, vcc_lo, v37, v23, vcc_lo
	s_waitcnt lgkmcnt(3)
	global_store_b128 v[18:19], v[0:3], off
	s_waitcnt lgkmcnt(2)
	global_store_b128 v[16:17], v[4:7], off
	s_waitcnt lgkmcnt(1)
	global_store_b128 v[20:21], v[8:11], off
	s_waitcnt lgkmcnt(0)
	global_store_b128 v[22:23], v[12:15], off
	ds_load_b128 v[0:3], v34 offset:17280
	ds_load_b128 v[4:7], v34 offset:19440
	v_lshlrev_b64 v[16:17], 4, v[221:222]
	v_add_nc_u32_e32 v221, 0x546, v35
	ds_load_b128 v[8:11], v34 offset:21600
	ds_load_b128 v[12:15], v34 offset:23760
	v_add_co_u32 v18, vcc_lo, v36, v24
	v_add_co_ci_u32_e32 v19, vcc_lo, v37, v25, vcc_lo
	;; [unrolled: 30-line block ×5, first 2 shown]
	v_lshlrev_b64 v[20:21], 4, v[221:222]
	v_add_nc_u32_e32 v221, 0xc21, v35
	v_add_co_u32 v16, vcc_lo, v36, v16
	v_add_co_ci_u32_e32 v17, vcc_lo, v37, v17, vcc_lo
	s_delay_alu instid0(VALU_DEP_3) | instskip(SKIP_3) | instid1(VALU_DEP_3)
	v_lshlrev_b64 v[22:23], 4, v[221:222]
	v_add_nc_u32_e32 v221, 0xca8, v35
	v_add_co_u32 v20, vcc_lo, v36, v20
	v_add_co_ci_u32_e32 v21, vcc_lo, v37, v21, vcc_lo
	v_lshlrev_b64 v[24:25], 4, v[221:222]
	v_add_nc_u32_e32 v221, 0xd2f, v35
	v_add_co_u32 v22, vcc_lo, v36, v22
	v_add_co_ci_u32_e32 v23, vcc_lo, v37, v23, vcc_lo
	s_waitcnt lgkmcnt(3)
	global_store_b128 v[18:19], v[0:3], off
	s_waitcnt lgkmcnt(2)
	global_store_b128 v[16:17], v[4:7], off
	;; [unrolled: 2-line block ×4, first 2 shown]
	v_lshlrev_b64 v[8:9], 4, v[221:222]
	v_add_nc_u32_e32 v221, 0xdb6, v35
	v_add_co_u32 v24, vcc_lo, v36, v24
	v_add_co_ci_u32_e32 v25, vcc_lo, v37, v25, vcc_lo
	s_delay_alu instid0(VALU_DEP_3) | instskip(SKIP_3) | instid1(VALU_DEP_4)
	v_lshlrev_b64 v[10:11], 4, v[221:222]
	v_add_co_u32 v26, vcc_lo, v36, v8
	v_add_nc_u32_e32 v221, 0xe3d, v35
	v_add_co_ci_u32_e32 v27, vcc_lo, v37, v9, vcc_lo
	v_add_co_u32 v30, vcc_lo, v36, v10
	ds_load_b128 v[0:3], v34 offset:51840
	ds_load_b128 v[4:7], v34 offset:54000
	v_add_co_ci_u32_e32 v31, vcc_lo, v37, v11, vcc_lo
	ds_load_b128 v[8:11], v34 offset:56160
	ds_load_b128 v[12:15], v34 offset:58320
	;; [unrolled: 1-line block ×4, first 2 shown]
	v_lshlrev_b64 v[28:29], 4, v[221:222]
	v_add_nc_u32_e32 v221, 0xec4, v35
	s_delay_alu instid0(VALU_DEP_1) | instskip(SKIP_1) | instid1(VALU_DEP_4)
	v_lshlrev_b64 v[32:33], 4, v[221:222]
	v_add_nc_u32_e32 v221, 0xf4b, v35
	v_add_co_u32 v28, vcc_lo, v36, v28
	v_add_co_ci_u32_e32 v29, vcc_lo, v37, v29, vcc_lo
	s_delay_alu instid0(VALU_DEP_3) | instskip(SKIP_2) | instid1(VALU_DEP_3)
	v_lshlrev_b64 v[34:35], 4, v[221:222]
	v_add_co_u32 v32, vcc_lo, v36, v32
	v_add_co_ci_u32_e32 v33, vcc_lo, v37, v33, vcc_lo
	v_add_co_u32 v34, vcc_lo, v36, v34
	s_delay_alu instid0(VALU_DEP_4)
	v_add_co_ci_u32_e32 v35, vcc_lo, v37, v35, vcc_lo
	s_waitcnt lgkmcnt(5)
	global_store_b128 v[24:25], v[0:3], off
	s_waitcnt lgkmcnt(4)
	global_store_b128 v[26:27], v[4:7], off
	;; [unrolled: 2-line block ×6, first 2 shown]
.LBB0_21:
	s_nop 0
	s_sendmsg sendmsg(MSG_DEALLOC_VGPRS)
	s_endpgm
	.section	.rodata,"a",@progbits
	.p2align	6, 0x0
	.amdhsa_kernel fft_rtc_back_len4050_factors_10_5_3_3_3_3_wgs_135_tpt_135_halfLds_dp_op_CI_CI_unitstride_sbrr_C2R_dirReg
		.amdhsa_group_segment_fixed_size 0
		.amdhsa_private_segment_fixed_size 80
		.amdhsa_kernarg_size 104
		.amdhsa_user_sgpr_count 15
		.amdhsa_user_sgpr_dispatch_ptr 0
		.amdhsa_user_sgpr_queue_ptr 0
		.amdhsa_user_sgpr_kernarg_segment_ptr 1
		.amdhsa_user_sgpr_dispatch_id 0
		.amdhsa_user_sgpr_private_segment_size 0
		.amdhsa_wavefront_size32 1
		.amdhsa_uses_dynamic_stack 0
		.amdhsa_enable_private_segment 1
		.amdhsa_system_sgpr_workgroup_id_x 1
		.amdhsa_system_sgpr_workgroup_id_y 0
		.amdhsa_system_sgpr_workgroup_id_z 0
		.amdhsa_system_sgpr_workgroup_info 0
		.amdhsa_system_vgpr_workitem_id 0
		.amdhsa_next_free_vgpr 256
		.amdhsa_next_free_sgpr 27
		.amdhsa_reserve_vcc 1
		.amdhsa_float_round_mode_32 0
		.amdhsa_float_round_mode_16_64 0
		.amdhsa_float_denorm_mode_32 3
		.amdhsa_float_denorm_mode_16_64 3
		.amdhsa_dx10_clamp 1
		.amdhsa_ieee_mode 1
		.amdhsa_fp16_overflow 0
		.amdhsa_workgroup_processor_mode 1
		.amdhsa_memory_ordered 1
		.amdhsa_forward_progress 0
		.amdhsa_shared_vgpr_count 0
		.amdhsa_exception_fp_ieee_invalid_op 0
		.amdhsa_exception_fp_denorm_src 0
		.amdhsa_exception_fp_ieee_div_zero 0
		.amdhsa_exception_fp_ieee_overflow 0
		.amdhsa_exception_fp_ieee_underflow 0
		.amdhsa_exception_fp_ieee_inexact 0
		.amdhsa_exception_int_div_zero 0
	.end_amdhsa_kernel
	.text
.Lfunc_end0:
	.size	fft_rtc_back_len4050_factors_10_5_3_3_3_3_wgs_135_tpt_135_halfLds_dp_op_CI_CI_unitstride_sbrr_C2R_dirReg, .Lfunc_end0-fft_rtc_back_len4050_factors_10_5_3_3_3_3_wgs_135_tpt_135_halfLds_dp_op_CI_CI_unitstride_sbrr_C2R_dirReg
                                        ; -- End function
	.section	.AMDGPU.csdata,"",@progbits
; Kernel info:
; codeLenInByte = 29824
; NumSgprs: 29
; NumVgprs: 256
; ScratchSize: 80
; MemoryBound: 0
; FloatMode: 240
; IeeeMode: 1
; LDSByteSize: 0 bytes/workgroup (compile time only)
; SGPRBlocks: 3
; VGPRBlocks: 31
; NumSGPRsForWavesPerEU: 29
; NumVGPRsForWavesPerEU: 256
; Occupancy: 5
; WaveLimiterHint : 1
; COMPUTE_PGM_RSRC2:SCRATCH_EN: 1
; COMPUTE_PGM_RSRC2:USER_SGPR: 15
; COMPUTE_PGM_RSRC2:TRAP_HANDLER: 0
; COMPUTE_PGM_RSRC2:TGID_X_EN: 1
; COMPUTE_PGM_RSRC2:TGID_Y_EN: 0
; COMPUTE_PGM_RSRC2:TGID_Z_EN: 0
; COMPUTE_PGM_RSRC2:TIDIG_COMP_CNT: 0
	.text
	.p2alignl 7, 3214868480
	.fill 96, 4, 3214868480
	.type	__hip_cuid_5153548f8ae7ebd5,@object ; @__hip_cuid_5153548f8ae7ebd5
	.section	.bss,"aw",@nobits
	.globl	__hip_cuid_5153548f8ae7ebd5
__hip_cuid_5153548f8ae7ebd5:
	.byte	0                               ; 0x0
	.size	__hip_cuid_5153548f8ae7ebd5, 1

	.ident	"AMD clang version 19.0.0git (https://github.com/RadeonOpenCompute/llvm-project roc-6.4.0 25133 c7fe45cf4b819c5991fe208aaa96edf142730f1d)"
	.section	".note.GNU-stack","",@progbits
	.addrsig
	.addrsig_sym __hip_cuid_5153548f8ae7ebd5
	.amdgpu_metadata
---
amdhsa.kernels:
  - .args:
      - .actual_access:  read_only
        .address_space:  global
        .offset:         0
        .size:           8
        .value_kind:     global_buffer
      - .offset:         8
        .size:           8
        .value_kind:     by_value
      - .actual_access:  read_only
        .address_space:  global
        .offset:         16
        .size:           8
        .value_kind:     global_buffer
      - .actual_access:  read_only
        .address_space:  global
        .offset:         24
        .size:           8
        .value_kind:     global_buffer
      - .actual_access:  read_only
        .address_space:  global
        .offset:         32
        .size:           8
        .value_kind:     global_buffer
      - .offset:         40
        .size:           8
        .value_kind:     by_value
      - .actual_access:  read_only
        .address_space:  global
        .offset:         48
        .size:           8
        .value_kind:     global_buffer
      - .actual_access:  read_only
        .address_space:  global
        .offset:         56
        .size:           8
        .value_kind:     global_buffer
      - .offset:         64
        .size:           4
        .value_kind:     by_value
      - .actual_access:  read_only
        .address_space:  global
        .offset:         72
        .size:           8
        .value_kind:     global_buffer
      - .actual_access:  read_only
        .address_space:  global
        .offset:         80
        .size:           8
        .value_kind:     global_buffer
      - .actual_access:  read_only
        .address_space:  global
        .offset:         88
        .size:           8
        .value_kind:     global_buffer
      - .actual_access:  write_only
        .address_space:  global
        .offset:         96
        .size:           8
        .value_kind:     global_buffer
    .group_segment_fixed_size: 0
    .kernarg_segment_align: 8
    .kernarg_segment_size: 104
    .language:       OpenCL C
    .language_version:
      - 2
      - 0
    .max_flat_workgroup_size: 135
    .name:           fft_rtc_back_len4050_factors_10_5_3_3_3_3_wgs_135_tpt_135_halfLds_dp_op_CI_CI_unitstride_sbrr_C2R_dirReg
    .private_segment_fixed_size: 80
    .sgpr_count:     29
    .sgpr_spill_count: 0
    .symbol:         fft_rtc_back_len4050_factors_10_5_3_3_3_3_wgs_135_tpt_135_halfLds_dp_op_CI_CI_unitstride_sbrr_C2R_dirReg.kd
    .uniform_work_group_size: 1
    .uses_dynamic_stack: false
    .vgpr_count:     256
    .vgpr_spill_count: 32
    .wavefront_size: 32
    .workgroup_processor_mode: 1
amdhsa.target:   amdgcn-amd-amdhsa--gfx1100
amdhsa.version:
  - 1
  - 2
...

	.end_amdgpu_metadata
